;; amdgpu-corpus repo=ROCm/rocFFT kind=compiled arch=gfx906 opt=O3
	.text
	.amdgcn_target "amdgcn-amd-amdhsa--gfx906"
	.amdhsa_code_object_version 6
	.protected	bluestein_single_fwd_len242_dim1_dp_op_CI_CI ; -- Begin function bluestein_single_fwd_len242_dim1_dp_op_CI_CI
	.globl	bluestein_single_fwd_len242_dim1_dp_op_CI_CI
	.p2align	8
	.type	bluestein_single_fwd_len242_dim1_dp_op_CI_CI,@function
bluestein_single_fwd_len242_dim1_dp_op_CI_CI: ; @bluestein_single_fwd_len242_dim1_dp_op_CI_CI
; %bb.0:
	v_mul_u32_u24_e32 v1, 0xba3, v0
	s_load_dwordx4 s[8:11], s[4:5], 0x28
	v_lshrrev_b32_e32 v1, 16, v1
	v_mad_u64_u32 v[156:157], s[0:1], s6, 5, v[1:2]
	v_mov_b32_e32 v157, 0
	s_waitcnt lgkmcnt(0)
	v_cmp_gt_u64_e32 vcc, s[8:9], v[156:157]
	s_and_saveexec_b64 s[0:1], vcc
	s_cbranch_execz .LBB0_10
; %bb.1:
	s_load_dwordx4 s[0:3], s[4:5], 0x18
	s_load_dwordx4 s[12:15], s[4:5], 0x0
	v_mul_lo_u16_e32 v1, 22, v1
	v_sub_u16_e32 v157, v0, v1
	v_lshlrev_b32_e32 v118, 4, v157
	s_waitcnt lgkmcnt(0)
	s_load_dwordx4 s[16:19], s[0:1], 0x0
	s_mov_b32 s22, 0xbb3a28a1
	s_mov_b32 s28, 0xfd768dbf
	;; [unrolled: 1-line block ×4, first 2 shown]
	s_waitcnt lgkmcnt(0)
	v_mad_u64_u32 v[0:1], s[0:1], s18, v156, 0
	v_mad_u64_u32 v[2:3], s[0:1], s16, v157, 0
	s_mov_b32 s23, 0xbfe82f19
	s_mov_b32 s29, 0xbfd207e7
	v_mad_u64_u32 v[4:5], s[0:1], s19, v156, v[1:2]
	s_mov_b32 s18, 0x43842ef
	s_mov_b32 s19, 0xbfefac9e
	v_mad_u64_u32 v[5:6], s[0:1], s17, v157, v[3:4]
	v_mov_b32_e32 v1, v4
	v_lshlrev_b64 v[0:1], 4, v[0:1]
	v_mov_b32_e32 v3, v5
	v_mov_b32_e32 v6, s11
	v_lshlrev_b64 v[2:3], 4, v[2:3]
	v_add_co_u32_e32 v0, vcc, s10, v0
	v_addc_co_u32_e32 v1, vcc, v6, v1, vcc
	v_add_co_u32_e32 v0, vcc, v0, v2
	s_mul_i32 s0, s17, 0x160
	s_mul_hi_u32 s1, s16, 0x160
	v_addc_co_u32_e32 v1, vcc, v1, v3, vcc
	s_add_i32 s0, s1, s0
	s_mul_i32 s1, s16, 0x160
	global_load_dwordx4 v[44:47], v[0:1], off
	v_mov_b32_e32 v2, s0
	v_add_co_u32_e32 v0, vcc, s1, v0
	v_addc_co_u32_e32 v1, vcc, v1, v2, vcc
	global_load_dwordx4 v[40:43], v118, s[12:13]
	global_load_dwordx4 v[24:27], v118, s[12:13] offset:352
	v_mov_b32_e32 v3, s0
	v_add_co_u32_e32 v2, vcc, s1, v0
	v_addc_co_u32_e32 v3, vcc, v1, v3, vcc
	global_load_dwordx4 v[48:51], v[0:1], off
	global_load_dwordx4 v[52:55], v[2:3], off
	global_load_dwordx4 v[32:35], v118, s[12:13] offset:704
	global_load_dwordx4 v[12:15], v118, s[12:13] offset:1056
	v_mov_b32_e32 v1, s0
	v_add_co_u32_e32 v0, vcc, s1, v2
	v_addc_co_u32_e32 v1, vcc, v3, v1, vcc
	v_mov_b32_e32 v3, s0
	v_add_co_u32_e32 v2, vcc, s1, v0
	v_addc_co_u32_e32 v3, vcc, v1, v3, vcc
	global_load_dwordx4 v[56:59], v[0:1], off
	global_load_dwordx4 v[60:63], v[2:3], off
	v_mov_b32_e32 v1, s0
	v_add_co_u32_e32 v0, vcc, s1, v2
	v_addc_co_u32_e32 v1, vcc, v3, v1, vcc
	global_load_dwordx4 v[64:67], v[0:1], off
	global_load_dwordx4 v[36:39], v118, s[12:13] offset:1408
	global_load_dwordx4 v[8:11], v118, s[12:13] offset:1760
	v_mov_b32_e32 v2, s0
	v_add_co_u32_e32 v0, vcc, s1, v0
	v_addc_co_u32_e32 v1, vcc, v1, v2, vcc
	global_load_dwordx4 v[68:71], v[0:1], off
	v_add_co_u32_e32 v0, vcc, s1, v0
	v_addc_co_u32_e32 v1, vcc, v1, v2, vcc
	global_load_dwordx4 v[72:75], v[0:1], off
	global_load_dwordx4 v[28:31], v118, s[12:13] offset:2112
	global_load_dwordx4 v[4:7], v118, s[12:13] offset:2464
	v_add_co_u32_e32 v0, vcc, s1, v0
	v_addc_co_u32_e32 v1, vcc, v1, v2, vcc
	v_add_co_u32_e32 v16, vcc, s1, v0
	v_addc_co_u32_e32 v17, vcc, v1, v2, vcc
	global_load_dwordx4 v[76:79], v[0:1], off
	v_mov_b32_e32 v18, s0
	v_add_co_u32_e32 v88, vcc, s1, v16
	global_load_dwordx4 v[80:83], v[16:17], off
	global_load_dwordx4 v[20:23], v118, s[12:13] offset:2816
	global_load_dwordx4 v[0:3], v118, s[12:13] offset:3168
	v_addc_co_u32_e32 v89, vcc, v17, v18, vcc
	global_load_dwordx4 v[84:87], v[88:89], off
	global_load_dwordx4 v[16:19], v118, s[12:13] offset:3520
	s_mov_b32 s0, 0xcccccccd
	v_mul_hi_u32 v100, v156, s0
	s_load_dwordx4 s[8:11], s[2:3], 0x0
	s_mov_b32 s2, 0xf8bb580b
	s_mov_b32 s3, 0xbfe14ced
	v_lshrrev_b32_e32 v100, 2, v100
	s_mov_b32 s20, 0x8764f0ba
	s_mov_b32 s16, 0xd9c712b6
	;; [unrolled: 1-line block ×16, first 2 shown]
	s_waitcnt vmcnt(20)
	v_mul_f64 v[88:89], v[46:47], v[42:43]
	v_mul_f64 v[90:91], v[44:45], v[42:43]
	s_waitcnt vmcnt(18)
	v_mul_f64 v[92:93], v[50:51], v[26:27]
	v_mul_f64 v[94:95], v[48:49], v[26:27]
	;; [unrolled: 3-line block ×3, first 2 shown]
	v_fma_f64 v[44:45], v[44:45], v[40:41], v[88:89]
	v_fma_f64 v[46:47], v[46:47], v[40:41], -v[90:91]
	v_lshl_add_u32 v88, v100, 2, v100
	v_sub_u32_e32 v88, v156, v88
	v_fma_f64 v[48:49], v[48:49], v[24:25], v[92:93]
	v_fma_f64 v[50:51], v[50:51], v[24:25], -v[94:95]
	v_fma_f64 v[52:53], v[52:53], v[32:33], v[96:97]
	v_fma_f64 v[54:55], v[54:55], v[32:33], -v[98:99]
	v_mul_u32_u24_e32 v88, 0xf2, v88
	v_lshlrev_b32_e32 v159, 4, v88
	v_add_u32_e32 v158, v118, v159
	ds_write_b128 v158, v[44:47]
	ds_write_b128 v158, v[48:51] offset:352
	ds_write_b128 v158, v[52:55] offset:704
	s_waitcnt vmcnt(11)
	v_mul_f64 v[48:49], v[62:63], v[38:39]
	v_mul_f64 v[50:51], v[60:61], v[38:39]
	s_waitcnt vmcnt(10)
	v_mul_f64 v[52:53], v[66:67], v[10:11]
	v_mul_f64 v[54:55], v[64:65], v[10:11]
	;; [unrolled: 1-line block ×4, first 2 shown]
	v_fma_f64 v[48:49], v[60:61], v[36:37], v[48:49]
	v_fma_f64 v[50:51], v[62:63], v[36:37], -v[50:51]
	v_fma_f64 v[52:53], v[64:65], v[8:9], v[52:53]
	s_waitcnt vmcnt(7)
	v_mul_f64 v[88:89], v[70:71], v[30:31]
	v_mul_f64 v[90:91], v[68:69], v[30:31]
	s_waitcnt vmcnt(6)
	v_mul_f64 v[60:61], v[74:75], v[6:7]
	v_mul_f64 v[62:63], v[72:73], v[6:7]
	v_fma_f64 v[54:55], v[66:67], v[8:9], -v[54:55]
	v_fma_f64 v[44:45], v[56:57], v[12:13], v[44:45]
	v_fma_f64 v[46:47], v[58:59], v[12:13], -v[46:47]
	v_fma_f64 v[56:57], v[68:69], v[28:29], v[88:89]
	;; [unrolled: 2-line block ×3, first 2 shown]
	v_fma_f64 v[62:63], v[74:75], v[4:5], -v[62:63]
	s_waitcnt vmcnt(3)
	v_mul_f64 v[64:65], v[78:79], v[22:23]
	v_mul_f64 v[66:67], v[76:77], v[22:23]
	s_waitcnt vmcnt(2)
	v_mul_f64 v[68:69], v[82:83], v[2:3]
	v_mul_f64 v[70:71], v[80:81], v[2:3]
	s_waitcnt vmcnt(0)
	v_mul_f64 v[88:89], v[86:87], v[18:19]
	v_mul_f64 v[90:91], v[84:85], v[18:19]
	v_fma_f64 v[64:65], v[76:77], v[20:21], v[64:65]
	v_fma_f64 v[66:67], v[78:79], v[20:21], -v[66:67]
	v_fma_f64 v[68:69], v[80:81], v[0:1], v[68:69]
	v_fma_f64 v[70:71], v[82:83], v[0:1], -v[70:71]
	;; [unrolled: 2-line block ×3, first 2 shown]
	ds_write_b128 v158, v[44:47] offset:1056
	ds_write_b128 v158, v[48:51] offset:1408
	;; [unrolled: 1-line block ×8, first 2 shown]
	s_waitcnt lgkmcnt(0)
	s_barrier
	ds_read_b128 v[48:51], v158
	ds_read_b128 v[52:55], v158 offset:352
	ds_read_b128 v[56:59], v158 offset:704
	ds_read_b128 v[60:63], v158 offset:1056
	ds_read_b128 v[64:67], v158 offset:1408
	ds_read_b128 v[68:71], v158 offset:1760
	ds_read_b128 v[72:75], v158 offset:2112
	ds_read_b128 v[76:79], v158 offset:2464
	ds_read_b128 v[80:83], v158 offset:2816
	ds_read_b128 v[84:87], v158 offset:3168
	s_waitcnt lgkmcnt(8)
	v_add_f64 v[44:45], v[48:49], v[52:53]
	v_add_f64 v[46:47], v[50:51], v[54:55]
	ds_read_b128 v[88:91], v158 offset:3520
	s_waitcnt lgkmcnt(0)
	v_add_f64 v[106:107], v[58:59], v[86:87]
	v_add_f64 v[104:105], v[56:57], v[84:85]
	s_barrier
	v_add_f64 v[92:93], v[54:55], -v[90:91]
	v_add_f64 v[44:45], v[44:45], v[56:57]
	v_add_f64 v[46:47], v[46:47], v[58:59]
	v_add_f64 v[94:95], v[52:53], v[88:89]
	v_add_f64 v[52:53], v[52:53], -v[88:89]
	v_add_f64 v[54:55], v[54:55], v[90:91]
	v_add_f64 v[58:59], v[58:59], -v[86:87]
	v_add_f64 v[56:57], v[56:57], -v[84:85]
	v_mul_f64 v[96:97], v[92:93], s[2:3]
	v_add_f64 v[44:45], v[44:45], v[60:61]
	v_add_f64 v[46:47], v[46:47], v[62:63]
	v_mul_f64 v[98:99], v[92:93], s[18:19]
	v_mul_f64 v[102:103], v[92:93], s[22:23]
	;; [unrolled: 1-line block ×6, first 2 shown]
	v_add_f64 v[44:45], v[44:45], v[64:65]
	v_add_f64 v[46:47], v[46:47], v[66:67]
	v_mul_f64 v[131:132], v[58:59], s[36:37]
	v_mul_f64 v[137:138], v[56:57], s[36:37]
	v_fma_f64 v[116:117], v[54:55], s[20:21], v[108:109]
	v_fma_f64 v[119:120], v[54:55], s[16:17], v[110:111]
	v_fma_f64 v[108:109], v[54:55], s[20:21], -v[108:109]
	v_fma_f64 v[110:111], v[54:55], s[16:17], -v[110:111]
	v_add_f64 v[44:45], v[44:45], v[68:69]
	v_add_f64 v[46:47], v[46:47], v[70:71]
	v_fma_f64 v[121:122], v[54:55], s[0:1], v[114:115]
	v_fma_f64 v[114:115], v[54:55], s[0:1], -v[114:115]
	v_fma_f64 v[135:136], v[104:105], s[26:27], -v[131:132]
	v_add_f64 v[108:109], v[50:51], v[108:109]
	v_add_f64 v[110:111], v[50:51], v[110:111]
	;; [unrolled: 1-line block ×13, first 2 shown]
	v_add_f64 v[62:63], v[62:63], -v[82:83]
	v_add_f64 v[82:83], v[64:65], -v[76:77]
	v_add_f64 v[64:65], v[64:65], v[76:77]
	v_add_f64 v[76:77], v[70:71], -v[74:75]
	v_add_f64 v[70:71], v[70:71], v[74:75]
	v_add_f64 v[44:45], v[44:45], v[88:89]
	v_mul_f64 v[88:89], v[92:93], s[6:7]
	v_mul_f64 v[74:75], v[92:93], s[28:29]
	v_add_f64 v[46:47], v[46:47], v[90:91]
	v_fma_f64 v[90:91], v[94:95], s[20:21], -v[96:97]
	v_fma_f64 v[96:97], v[94:95], s[20:21], v[96:97]
	v_add_f64 v[84:85], v[60:61], v[80:81]
	v_add_f64 v[60:61], v[60:61], -v[80:81]
	v_add_f64 v[80:81], v[66:67], -v[78:79]
	v_fma_f64 v[100:101], v[94:95], s[16:17], -v[88:89]
	v_fma_f64 v[88:89], v[94:95], s[16:17], v[88:89]
	v_add_f64 v[66:67], v[66:67], v[78:79]
	v_add_f64 v[78:79], v[68:69], -v[72:73]
	v_add_f64 v[68:69], v[68:69], v[72:73]
	v_fma_f64 v[72:73], v[94:95], s[0:1], -v[98:99]
	v_fma_f64 v[92:93], v[94:95], s[0:1], v[98:99]
	v_fma_f64 v[98:99], v[94:95], s[24:25], -v[102:103]
	v_fma_f64 v[102:103], v[94:95], s[24:25], v[102:103]
	;; [unrolled: 2-line block ×3, first 2 shown]
	v_mul_f64 v[94:95], v[52:53], s[22:23]
	v_mul_f64 v[52:53], v[52:53], s[28:29]
	v_add_f64 v[96:97], v[48:49], v[96:97]
	v_add_f64 v[100:101], v[48:49], v[100:101]
	;; [unrolled: 1-line block ×6, first 2 shown]
	v_fma_f64 v[123:124], v[54:55], s[24:25], v[94:95]
	v_fma_f64 v[94:95], v[54:55], s[24:25], -v[94:95]
	v_fma_f64 v[125:126], v[54:55], s[26:27], v[52:53]
	v_fma_f64 v[52:53], v[54:55], s[26:27], -v[52:53]
	v_add_f64 v[54:55], v[48:49], v[90:91]
	v_add_f64 v[90:91], v[50:51], v[116:117]
	;; [unrolled: 1-line block ×3, first 2 shown]
	v_mul_f64 v[119:120], v[58:59], s[6:7]
	v_add_f64 v[123:124], v[50:51], v[123:124]
	v_add_f64 v[102:103], v[48:49], v[102:103]
	;; [unrolled: 1-line block ×6, first 2 shown]
	v_fma_f64 v[74:75], v[106:107], s[16:17], v[127:128]
	v_fma_f64 v[129:130], v[104:105], s[16:17], -v[119:120]
	v_add_f64 v[50:51], v[50:51], v[52:53]
	s_mov_b32 s7, 0x3fed1bb4
	v_add_f64 v[72:73], v[135:136], v[72:73]
	v_add_f64 v[74:75], v[74:75], v[90:91]
	;; [unrolled: 1-line block ×3, first 2 shown]
	v_mul_f64 v[54:55], v[58:59], s[22:23]
	v_mul_f64 v[129:130], v[56:57], s[22:23]
	v_fma_f64 v[90:91], v[104:105], s[16:17], v[119:120]
	v_fma_f64 v[119:120], v[106:107], s[16:17], -v[127:128]
	v_fma_f64 v[127:128], v[104:105], s[24:25], -v[54:55]
	v_fma_f64 v[133:134], v[106:107], s[24:25], v[129:130]
	v_fma_f64 v[54:55], v[104:105], s[24:25], v[54:55]
	v_fma_f64 v[129:130], v[106:107], s[24:25], -v[129:130]
	v_add_f64 v[90:91], v[90:91], v[96:97]
	v_add_f64 v[96:97], v[119:120], v[108:109]
	v_fma_f64 v[119:120], v[106:107], s[26:27], -v[137:138]
	v_add_f64 v[100:101], v[127:128], v[100:101]
	v_add_f64 v[108:109], v[133:134], v[116:117]
	v_add_f64 v[54:55], v[54:55], v[88:89]
	v_add_f64 v[88:89], v[129:130], v[110:111]
	v_fma_f64 v[110:111], v[106:107], s[26:27], v[137:138]
	v_fma_f64 v[116:117], v[104:105], s[26:27], v[131:132]
	v_mul_f64 v[127:128], v[58:59], s[34:35]
	v_mul_f64 v[58:59], v[58:59], s[30:31]
	;; [unrolled: 1-line block ×4, first 2 shown]
	v_add_f64 v[114:115], v[119:120], v[114:115]
	v_add_f64 v[110:111], v[110:111], v[121:122]
	;; [unrolled: 1-line block ×3, first 2 shown]
	v_fma_f64 v[116:117], v[104:105], s[0:1], -v[127:128]
	v_fma_f64 v[119:120], v[104:105], s[0:1], v[127:128]
	v_fma_f64 v[121:122], v[104:105], s[20:21], -v[58:59]
	v_fma_f64 v[127:128], v[106:107], s[0:1], v[129:130]
	v_fma_f64 v[58:59], v[104:105], s[20:21], v[58:59]
	v_mul_f64 v[104:105], v[62:63], s[18:19]
	v_fma_f64 v[129:130], v[106:107], s[0:1], -v[129:130]
	v_fma_f64 v[131:132], v[106:107], s[20:21], v[56:57]
	v_fma_f64 v[56:57], v[106:107], s[20:21], -v[56:57]
	v_mul_f64 v[106:107], v[60:61], s[18:19]
	v_add_f64 v[98:99], v[116:117], v[98:99]
	v_add_f64 v[116:117], v[127:128], v[123:124]
	;; [unrolled: 1-line block ×3, first 2 shown]
	v_fma_f64 v[119:120], v[84:85], s[0:1], -v[104:105]
	v_add_f64 v[48:49], v[58:59], v[48:49]
	v_mul_f64 v[58:59], v[60:61], s[36:37]
	v_add_f64 v[50:51], v[56:57], v[50:51]
	v_fma_f64 v[123:124], v[86:87], s[0:1], v[106:107]
	v_mul_f64 v[56:57], v[62:63], s[36:37]
	v_add_f64 v[112:113], v[121:122], v[112:113]
	v_add_f64 v[121:122], v[131:132], v[125:126]
	;; [unrolled: 1-line block ×3, first 2 shown]
	v_fma_f64 v[104:105], v[84:85], s[0:1], v[104:105]
	v_fma_f64 v[106:107], v[86:87], s[0:1], -v[106:107]
	v_mul_f64 v[119:120], v[62:63], s[6:7]
	v_add_f64 v[74:75], v[123:124], v[74:75]
	v_fma_f64 v[123:124], v[84:85], s[26:27], -v[56:57]
	v_mul_f64 v[125:126], v[60:61], s[6:7]
	v_fma_f64 v[127:128], v[86:87], s[26:27], v[58:59]
	v_fma_f64 v[56:57], v[84:85], s[26:27], v[56:57]
	v_add_f64 v[90:91], v[104:105], v[90:91]
	v_add_f64 v[96:97], v[106:107], v[96:97]
	v_fma_f64 v[58:59], v[86:87], s[26:27], -v[58:59]
	v_fma_f64 v[104:105], v[84:85], s[16:17], -v[119:120]
	v_add_f64 v[100:101], v[123:124], v[100:101]
	v_fma_f64 v[106:107], v[86:87], s[16:17], v[125:126]
	v_add_f64 v[108:109], v[127:128], v[108:109]
	v_mul_f64 v[123:124], v[62:63], s[2:3]
	v_mul_f64 v[127:128], v[60:61], s[2:3]
	v_add_f64 v[54:55], v[56:57], v[54:55]
	v_add_f64 v[56:57], v[58:59], v[88:89]
	v_add_f64 v[58:59], v[104:105], v[72:73]
	v_fma_f64 v[72:73], v[84:85], s[16:17], v[119:120]
	v_add_f64 v[88:89], v[106:107], v[110:111]
	v_fma_f64 v[104:105], v[86:87], s[16:17], -v[125:126]
	v_fma_f64 v[106:107], v[84:85], s[20:21], -v[123:124]
	v_fma_f64 v[110:111], v[86:87], s[20:21], v[127:128]
	v_mul_f64 v[62:63], v[62:63], s[22:23]
	v_mul_f64 v[60:61], v[60:61], s[22:23]
	v_add_f64 v[94:95], v[129:130], v[94:95]
	v_add_f64 v[72:73], v[72:73], v[92:93]
	v_fma_f64 v[92:93], v[86:87], s[20:21], -v[127:128]
	v_add_f64 v[104:105], v[104:105], v[114:115]
	v_add_f64 v[98:99], v[106:107], v[98:99]
	;; [unrolled: 1-line block ×3, first 2 shown]
	v_fma_f64 v[110:111], v[84:85], s[24:25], -v[62:63]
	v_fma_f64 v[114:115], v[86:87], s[24:25], v[60:61]
	v_mul_f64 v[116:117], v[80:81], s[22:23]
	v_fma_f64 v[119:120], v[84:85], s[20:21], v[123:124]
	v_add_f64 v[92:93], v[92:93], v[94:95]
	v_mul_f64 v[94:95], v[82:83], s[22:23]
	v_fma_f64 v[62:63], v[84:85], s[24:25], v[62:63]
	v_fma_f64 v[60:61], v[86:87], s[24:25], -v[60:61]
	v_add_f64 v[84:85], v[110:111], v[112:113]
	v_add_f64 v[86:87], v[114:115], v[121:122]
	v_mul_f64 v[110:111], v[80:81], s[34:35]
	v_fma_f64 v[112:113], v[64:65], s[24:25], -v[116:117]
	v_mul_f64 v[114:115], v[82:83], s[34:35]
	v_add_f64 v[102:103], v[119:120], v[102:103]
	v_fma_f64 v[119:120], v[66:67], s[24:25], v[94:95]
	v_add_f64 v[48:49], v[62:63], v[48:49]
	v_add_f64 v[60:61], v[60:61], v[50:51]
	v_fma_f64 v[50:51], v[64:65], s[24:25], v[116:117]
	v_fma_f64 v[62:63], v[66:67], s[24:25], -v[94:95]
	v_fma_f64 v[94:95], v[64:65], s[0:1], -v[110:111]
	v_add_f64 v[52:53], v[112:113], v[52:53]
	v_fma_f64 v[112:113], v[66:67], s[0:1], v[114:115]
	v_mul_f64 v[116:117], v[80:81], s[2:3]
	v_add_f64 v[74:75], v[119:120], v[74:75]
	v_mul_f64 v[119:120], v[82:83], s[2:3]
	v_add_f64 v[90:91], v[50:51], v[90:91]
	v_add_f64 v[62:63], v[62:63], v[96:97]
	;; [unrolled: 1-line block ×3, first 2 shown]
	v_fma_f64 v[50:51], v[64:65], s[0:1], v[110:111]
	v_add_f64 v[96:97], v[112:113], v[108:109]
	v_fma_f64 v[100:101], v[66:67], s[0:1], -v[114:115]
	v_fma_f64 v[108:109], v[64:65], s[20:21], -v[116:117]
	v_mul_f64 v[112:113], v[80:81], s[28:29]
	v_mul_f64 v[114:115], v[82:83], s[28:29]
	v_fma_f64 v[110:111], v[66:67], s[20:21], v[119:120]
	v_fma_f64 v[116:117], v[64:65], s[20:21], v[116:117]
	v_add_f64 v[121:122], v[50:51], v[54:55]
	v_fma_f64 v[50:51], v[66:67], s[20:21], -v[119:120]
	v_add_f64 v[100:101], v[100:101], v[56:57]
	v_add_f64 v[108:109], v[108:109], v[58:59]
	v_fma_f64 v[54:55], v[64:65], s[26:27], -v[112:113]
	v_fma_f64 v[56:57], v[66:67], s[26:27], v[114:115]
	v_mul_f64 v[58:59], v[80:81], s[6:7]
	v_add_f64 v[88:89], v[110:111], v[88:89]
	v_add_f64 v[110:111], v[116:117], v[72:73]
	;; [unrolled: 1-line block ×3, first 2 shown]
	v_mul_f64 v[50:51], v[82:83], s[6:7]
	v_fma_f64 v[82:83], v[66:67], s[26:27], -v[114:115]
	v_add_f64 v[98:99], v[54:55], v[98:99]
	v_add_f64 v[104:105], v[56:57], v[106:107]
	v_mul_f64 v[54:55], v[76:77], s[28:29]
	v_fma_f64 v[56:57], v[64:65], s[16:17], -v[58:59]
	v_mul_f64 v[106:107], v[78:79], s[28:29]
	v_fma_f64 v[72:73], v[64:65], s[26:27], v[112:113]
	v_fma_f64 v[112:113], v[66:67], s[16:17], v[50:51]
	v_add_f64 v[82:83], v[82:83], v[92:93]
	v_fma_f64 v[58:59], v[64:65], s[16:17], v[58:59]
	v_fma_f64 v[64:65], v[66:67], s[16:17], -v[50:51]
	v_fma_f64 v[50:51], v[68:69], s[26:27], -v[54:55]
	v_add_f64 v[84:85], v[56:57], v[84:85]
	v_fma_f64 v[56:57], v[70:71], s[26:27], v[106:107]
	v_mul_f64 v[66:67], v[76:77], s[30:31]
	v_mul_f64 v[92:93], v[78:79], s[30:31]
	v_fma_f64 v[54:55], v[68:69], s[26:27], v[54:55]
	v_fma_f64 v[106:107], v[70:71], s[26:27], -v[106:107]
	v_add_f64 v[102:103], v[72:73], v[102:103]
	v_add_f64 v[86:87], v[112:113], v[86:87]
	;; [unrolled: 1-line block ×5, first 2 shown]
	v_fma_f64 v[52:53], v[68:69], s[20:21], -v[66:67]
	v_fma_f64 v[56:57], v[70:71], s[20:21], v[92:93]
	v_add_f64 v[72:73], v[54:55], v[90:91]
	v_add_f64 v[74:75], v[106:107], v[62:63]
	v_mul_f64 v[62:63], v[76:77], s[22:23]
	v_mul_f64 v[90:91], v[78:79], s[22:23]
	v_fma_f64 v[58:59], v[68:69], s[20:21], v[66:67]
	v_fma_f64 v[66:67], v[70:71], s[20:21], -v[92:93]
	v_add_f64 v[92:93], v[64:65], v[60:61]
	v_add_f64 v[52:53], v[52:53], v[94:95]
	;; [unrolled: 1-line block ×3, first 2 shown]
	v_mul_f64 v[94:95], v[76:77], s[6:7]
	v_mul_f64 v[96:97], v[78:79], s[6:7]
	v_fma_f64 v[64:65], v[70:71], s[24:25], v[90:91]
	v_add_f64 v[56:57], v[58:59], v[121:122]
	v_add_f64 v[58:59], v[66:67], v[100:101]
	v_fma_f64 v[66:67], v[68:69], s[24:25], v[62:63]
	v_fma_f64 v[90:91], v[70:71], s[24:25], -v[90:91]
	v_mul_f64 v[76:77], v[76:77], s[18:19]
	v_mul_f64 v[78:79], v[78:79], s[18:19]
	v_fma_f64 v[60:61], v[68:69], s[24:25], -v[62:63]
	v_add_f64 v[62:63], v[64:65], v[88:89]
	v_fma_f64 v[88:89], v[70:71], s[16:17], v[96:97]
	s_load_dwordx2 s[2:3], s[4:5], 0x38
	v_add_f64 v[64:65], v[66:67], v[110:111]
	v_add_f64 v[66:67], v[90:91], v[80:81]
	v_fma_f64 v[80:81], v[68:69], s[16:17], -v[94:95]
	v_fma_f64 v[90:91], v[68:69], s[16:17], v[94:95]
	v_fma_f64 v[94:95], v[70:71], s[16:17], -v[96:97]
	v_fma_f64 v[96:97], v[68:69], s[0:1], -v[76:77]
	v_fma_f64 v[100:101], v[70:71], s[0:1], v[78:79]
	v_add_f64 v[60:61], v[60:61], v[108:109]
	v_fma_f64 v[106:107], v[68:69], s[0:1], v[76:77]
	v_fma_f64 v[108:109], v[70:71], s[0:1], -v[78:79]
	v_add_f64 v[68:69], v[80:81], v[98:99]
	v_add_f64 v[70:71], v[88:89], v[104:105]
	;; [unrolled: 1-line block ×5, first 2 shown]
	v_mul_lo_u16_e32 v88, 11, v157
	v_add_f64 v[84:85], v[106:107], v[112:113]
	v_add_f64 v[86:87], v[108:109], v[92:93]
	;; [unrolled: 1-line block ×3, first 2 shown]
	v_lshl_add_u32 v119, v88, 4, v159
	ds_write_b128 v119, v[44:47]
	ds_write_b128 v119, v[48:51] offset:16
	ds_write_b128 v119, v[52:55] offset:32
	;; [unrolled: 1-line block ×10, first 2 shown]
	s_waitcnt lgkmcnt(0)
	s_barrier
	ds_read_b128 v[76:79], v158
	ds_read_b128 v[80:83], v158 offset:352
	ds_read_b128 v[92:95], v158 offset:2288
	;; [unrolled: 1-line block ×9, first 2 shown]
	v_mov_b32_e32 v114, s13
	v_add_co_u32_e32 v116, vcc, s12, v118
	v_addc_co_u32_e32 v117, vcc, 0, v114, vcc
	v_cmp_gt_u16_e32 vcc, 11, v157
                                        ; implicit-def: $vgpr112_vgpr113
	s_and_saveexec_b64 s[0:1], vcc
	s_cbranch_execz .LBB0_3
; %bb.2:
	ds_read_b128 v[72:75], v158 offset:1760
	ds_read_b128 v[112:115], v158 offset:3696
.LBB0_3:
	s_or_b64 exec, exec, s[0:1]
	v_add_co_u32_e64 v44, s[0:1], -11, v157
	v_addc_co_u32_e64 v45, s[0:1], 0, -1, s[0:1]
	v_cndmask_b32_e64 v122, v45, 0, vcc
	v_cndmask_b32_e32 v121, v44, v157, vcc
	v_lshlrev_b64 v[44:45], 4, v[121:122]
	v_mov_b32_e32 v46, s15
	v_add_co_u32_e64 v44, s[0:1], s14, v44
	v_addc_co_u32_e64 v45, s[0:1], v46, v45, s[0:1]
	v_add_u16_e32 v46, 22, v157
	s_movk_i32 s0, 0x75
	v_mul_lo_u16_sdwa v47, v46, s0 dst_sel:DWORD dst_unused:UNUSED_PAD src0_sel:BYTE_0 src1_sel:DWORD
	v_sub_u16_sdwa v48, v46, v47 dst_sel:DWORD dst_unused:UNUSED_PAD src0_sel:DWORD src1_sel:BYTE_1
	v_lshrrev_b16_e32 v48, 1, v48
	v_and_b32_e32 v48, 0x7f, v48
	v_add_u16_sdwa v47, v48, v47 dst_sel:DWORD dst_unused:UNUSED_PAD src0_sel:DWORD src1_sel:BYTE_1
	v_lshrrev_b16_e32 v146, 3, v47
	v_mul_lo_u16_e32 v47, 11, v146
	v_sub_u16_e32 v147, v46, v47
	v_mov_b32_e32 v46, 4
	v_lshlrev_b32_sdwa v47, v46, v147 dst_sel:DWORD dst_unused:UNUSED_PAD src0_sel:DWORD src1_sel:BYTE_0
	global_load_dwordx4 v[52:55], v[44:45], off
	global_load_dwordx4 v[48:51], v47, s[14:15]
	v_add_u16_e32 v44, 44, v157
	v_mul_lo_u16_sdwa v45, v44, s0 dst_sel:DWORD dst_unused:UNUSED_PAD src0_sel:BYTE_0 src1_sel:DWORD
	v_sub_u16_sdwa v47, v44, v45 dst_sel:DWORD dst_unused:UNUSED_PAD src0_sel:DWORD src1_sel:BYTE_1
	v_lshrrev_b16_e32 v47, 1, v47
	v_and_b32_e32 v47, 0x7f, v47
	v_add_u16_sdwa v45, v47, v45 dst_sel:DWORD dst_unused:UNUSED_PAD src0_sel:DWORD src1_sel:BYTE_1
	v_lshrrev_b16_e32 v148, 3, v45
	v_mul_lo_u16_e32 v45, 11, v148
	v_sub_u16_e32 v149, v44, v45
	v_add_u16_e32 v45, 0x42, v157
	v_mul_lo_u16_sdwa v47, v45, s0 dst_sel:DWORD dst_unused:UNUSED_PAD src0_sel:BYTE_0 src1_sel:DWORD
	v_sub_u16_sdwa v56, v45, v47 dst_sel:DWORD dst_unused:UNUSED_PAD src0_sel:DWORD src1_sel:BYTE_1
	v_lshrrev_b16_e32 v56, 1, v56
	v_and_b32_e32 v56, 0x7f, v56
	v_add_u16_sdwa v47, v56, v47 dst_sel:DWORD dst_unused:UNUSED_PAD src0_sel:DWORD src1_sel:BYTE_1
	v_lshrrev_b16_e32 v150, 3, v47
	v_mul_lo_u16_e32 v47, 11, v150
	v_lshlrev_b32_sdwa v44, v46, v149 dst_sel:DWORD dst_unused:UNUSED_PAD src0_sel:DWORD src1_sel:BYTE_0
	v_sub_u16_e32 v151, v45, v47
	v_lshlrev_b32_sdwa v45, v46, v151 dst_sel:DWORD dst_unused:UNUSED_PAD src0_sel:DWORD src1_sel:BYTE_0
	global_load_dwordx4 v[60:63], v44, s[14:15]
	global_load_dwordx4 v[56:59], v45, s[14:15]
	v_add_u16_e32 v44, 0x58, v157
	v_mul_lo_u16_sdwa v45, v44, s0 dst_sel:DWORD dst_unused:UNUSED_PAD src0_sel:BYTE_0 src1_sel:DWORD
	v_sub_u16_sdwa v47, v44, v45 dst_sel:DWORD dst_unused:UNUSED_PAD src0_sel:DWORD src1_sel:BYTE_1
	v_lshrrev_b16_e32 v47, 1, v47
	v_and_b32_e32 v47, 0x7f, v47
	v_add_u16_sdwa v45, v47, v45 dst_sel:DWORD dst_unused:UNUSED_PAD src0_sel:DWORD src1_sel:BYTE_1
	v_lshrrev_b16_e32 v152, 3, v45
	v_mul_lo_u16_e32 v45, 11, v152
	v_sub_u16_e32 v153, v44, v45
	v_add_u16_e32 v45, 0x6e, v157
	v_lshlrev_b32_sdwa v44, v46, v153 dst_sel:DWORD dst_unused:UNUSED_PAD src0_sel:DWORD src1_sel:BYTE_0
	v_mul_lo_u16_sdwa v46, v45, s0 dst_sel:DWORD dst_unused:UNUSED_PAD src0_sel:BYTE_0 src1_sel:DWORD
	v_sub_u16_sdwa v47, v45, v46 dst_sel:DWORD dst_unused:UNUSED_PAD src0_sel:DWORD src1_sel:BYTE_1
	v_lshrrev_b16_e32 v47, 1, v47
	global_load_dwordx4 v[68:71], v44, s[14:15]
	v_and_b32_e32 v47, 0x7f, v47
	v_add_u16_sdwa v46, v47, v46 dst_sel:DWORD dst_unused:UNUSED_PAD src0_sel:DWORD src1_sel:BYTE_1
	v_lshrrev_b16_e32 v46, 3, v46
	v_mul_lo_u16_e32 v46, 11, v46
	v_sub_u16_e32 v160, v45, v46
	v_and_b32_e32 v120, 0xff, v160
	v_lshlrev_b32_e32 v44, 4, v120
	global_load_dwordx4 v[44:47], v44, s[14:15]
	v_cmp_lt_u16_e64 s[0:1], 10, v157
	s_waitcnt vmcnt(0) lgkmcnt(0)
	s_barrier
	v_mul_f64 v[122:123], v[110:111], v[54:55]
	v_mul_f64 v[124:125], v[108:109], v[54:55]
	;; [unrolled: 1-line block ×4, first 2 shown]
	v_fma_f64 v[108:109], v[108:109], v[52:53], -v[122:123]
	v_fma_f64 v[110:111], v[110:111], v[52:53], v[124:125]
	v_fma_f64 v[122:123], v[92:93], v[48:49], -v[126:127]
	v_fma_f64 v[124:125], v[94:95], v[48:49], v[128:129]
	v_add_f64 v[92:93], v[76:77], -v[108:109]
	v_add_f64 v[94:95], v[78:79], -v[110:111]
	v_mul_f64 v[130:131], v[98:99], v[62:63]
	v_mul_f64 v[132:133], v[96:97], v[62:63]
	;; [unrolled: 1-line block ×4, first 2 shown]
	v_fma_f64 v[76:77], v[76:77], 2.0, -v[92:93]
	v_fma_f64 v[78:79], v[78:79], 2.0, -v[94:95]
	v_fma_f64 v[126:127], v[96:97], v[60:61], -v[130:131]
	v_fma_f64 v[128:129], v[98:99], v[60:61], v[132:133]
	v_fma_f64 v[104:105], v[104:105], v[56:57], -v[134:135]
	v_fma_f64 v[106:107], v[106:107], v[56:57], v[136:137]
	v_add_f64 v[96:97], v[80:81], -v[122:123]
	v_add_f64 v[98:99], v[82:83], -v[124:125]
	v_cndmask_b32_e64 v122, 0, 22, s[0:1]
	v_add_u32_e32 v121, v121, v122
	v_mul_f64 v[138:139], v[102:103], v[70:71]
	v_mul_f64 v[140:141], v[100:101], v[70:71]
	v_add_f64 v[104:105], v[84:85], -v[104:105]
	v_add_f64 v[106:107], v[86:87], -v[106:107]
	v_lshl_add_u32 v161, v121, 4, v159
	ds_write_b128 v161, v[76:79]
	ds_write_b128 v161, v[92:95] offset:176
	v_mad_legacy_u16 v76, v146, 22, v147
	v_fma_f64 v[80:81], v[80:81], 2.0, -v[96:97]
	v_mul_f64 v[142:143], v[114:115], v[46:47]
	v_mul_f64 v[144:145], v[112:113], v[46:47]
	v_fma_f64 v[130:131], v[100:101], v[68:69], -v[138:139]
	v_fma_f64 v[132:133], v[102:103], v[68:69], v[140:141]
	v_add_f64 v[100:101], v[88:89], -v[126:127]
	v_add_f64 v[102:103], v[90:91], -v[128:129]
	v_fma_f64 v[82:83], v[82:83], 2.0, -v[98:99]
	v_fma_f64 v[84:85], v[84:85], 2.0, -v[104:105]
	v_fma_f64 v[134:135], v[112:113], v[44:45], -v[142:143]
	v_fma_f64 v[136:137], v[114:115], v[44:45], v[144:145]
	v_add_f64 v[108:109], v[64:65], -v[130:131]
	v_add_f64 v[110:111], v[66:67], -v[132:133]
	v_fma_f64 v[88:89], v[88:89], 2.0, -v[100:101]
	v_fma_f64 v[90:91], v[90:91], 2.0, -v[102:103]
	;; [unrolled: 1-line block ×3, first 2 shown]
	v_and_b32_e32 v76, 0xff, v76
	v_lshl_add_u32 v162, v76, 4, v159
	v_mul_u32_u24_e32 v76, 22, v148
	v_fma_f64 v[112:113], v[64:65], 2.0, -v[108:109]
	v_fma_f64 v[114:115], v[66:67], 2.0, -v[110:111]
	v_add_f64 v[64:65], v[72:73], -v[134:135]
	v_add_f64 v[66:67], v[74:75], -v[136:137]
	v_add_u32_sdwa v76, v76, v149 dst_sel:DWORD dst_unused:UNUSED_PAD src0_sel:DWORD src1_sel:BYTE_0
	v_lshl_add_u32 v163, v76, 4, v159
	v_mul_u32_u24_e32 v76, 22, v150
	v_add_u32_sdwa v76, v76, v151 dst_sel:DWORD dst_unused:UNUSED_PAD src0_sel:DWORD src1_sel:BYTE_0
	v_lshl_add_u32 v164, v76, 4, v159
	v_mul_u32_u24_e32 v76, 22, v152
	v_add_u32_sdwa v76, v76, v153 dst_sel:DWORD dst_unused:UNUSED_PAD src0_sel:DWORD src1_sel:BYTE_0
	v_lshl_add_u32 v165, v76, 4, v159
	ds_write_b128 v162, v[80:83]
	ds_write_b128 v162, v[96:99] offset:176
	ds_write_b128 v163, v[88:91]
	ds_write_b128 v163, v[100:103] offset:176
	;; [unrolled: 2-line block ×4, first 2 shown]
	s_and_saveexec_b64 s[0:1], vcc
	s_cbranch_execz .LBB0_5
; %bb.4:
	v_fma_f64 v[74:75], v[74:75], 2.0, -v[66:67]
	v_fma_f64 v[72:73], v[72:73], 2.0, -v[64:65]
	v_lshl_add_u32 v76, v120, 4, v159
	ds_write_b128 v76, v[72:75] offset:3520
	ds_write_b128 v76, v[64:67] offset:3696
.LBB0_5:
	s_or_b64 exec, exec, s[0:1]
	v_mov_b32_e32 v73, s15
	s_movk_i32 s0, 0xa0
	v_mov_b32_e32 v72, s14
	v_mad_u64_u32 v[112:113], s[0:1], v157, s0, v[72:73]
	s_waitcnt lgkmcnt(0)
	s_barrier
	global_load_dwordx4 v[108:111], v[112:113], off offset:176
	global_load_dwordx4 v[100:103], v[112:113], off offset:192
	;; [unrolled: 1-line block ×10, first 2 shown]
	ds_read_b128 v[112:115], v158
	ds_read_b128 v[120:123], v158 offset:352
	ds_read_b128 v[124:127], v158 offset:704
	ds_read_b128 v[128:131], v158 offset:1056
	ds_read_b128 v[132:135], v158 offset:1408
	ds_read_b128 v[136:139], v158 offset:1760
	ds_read_b128 v[140:143], v158 offset:2112
	ds_read_b128 v[144:147], v158 offset:2464
	ds_read_b128 v[148:151], v158 offset:2816
	ds_read_b128 v[152:155], v158 offset:3168
	ds_read_b128 v[166:169], v158 offset:3520
	s_mov_b32 s18, 0xf8bb580b
	s_mov_b32 s0, 0x8eee2c13
	;; [unrolled: 1-line block ×25, first 2 shown]
	s_add_u32 s12, s12, 0xf20
	s_addc_u32 s13, s13, 0
	s_waitcnt vmcnt(9) lgkmcnt(9)
	v_mul_f64 v[170:171], v[122:123], v[110:111]
	v_mul_f64 v[172:173], v[120:121], v[110:111]
	s_waitcnt vmcnt(8) lgkmcnt(8)
	v_mul_f64 v[174:175], v[126:127], v[102:103]
	v_mul_f64 v[176:177], v[124:125], v[102:103]
	s_waitcnt vmcnt(7) lgkmcnt(7)
	v_mul_f64 v[178:179], v[130:131], v[86:87]
	s_waitcnt vmcnt(6) lgkmcnt(6)
	v_mul_f64 v[182:183], v[134:135], v[78:79]
	v_mul_f64 v[180:181], v[128:129], v[86:87]
	;; [unrolled: 1-line block ×3, first 2 shown]
	s_waitcnt vmcnt(1) lgkmcnt(1)
	v_mul_f64 v[202:203], v[154:155], v[94:95]
	v_fma_f64 v[120:121], v[120:121], v[108:109], -v[170:171]
	v_mul_f64 v[204:205], v[152:153], v[94:95]
	v_fma_f64 v[122:123], v[122:123], v[108:109], v[172:173]
	v_fma_f64 v[124:125], v[124:125], v[100:101], -v[174:175]
	v_fma_f64 v[126:127], v[126:127], v[100:101], v[176:177]
	s_waitcnt vmcnt(0) lgkmcnt(0)
	v_mul_f64 v[206:207], v[168:169], v[98:99]
	v_fma_f64 v[128:129], v[128:129], v[84:85], -v[178:179]
	v_fma_f64 v[152:153], v[152:153], v[92:93], -v[202:203]
	v_add_f64 v[170:171], v[112:113], v[120:121]
	v_fma_f64 v[154:155], v[154:155], v[92:93], v[204:205]
	v_add_f64 v[172:173], v[114:115], v[122:123]
	v_fma_f64 v[132:133], v[132:133], v[76:77], -v[182:183]
	v_mul_f64 v[208:209], v[166:167], v[98:99]
	v_fma_f64 v[130:131], v[130:131], v[84:85], v[180:181]
	v_fma_f64 v[134:135], v[134:135], v[76:77], v[184:185]
	v_add_f64 v[178:179], v[124:125], v[152:153]
	v_add_f64 v[182:183], v[124:125], -v[152:153]
	v_add_f64 v[124:125], v[170:171], v[124:125]
	v_add_f64 v[180:181], v[126:127], v[154:155]
	v_add_f64 v[184:185], v[126:127], -v[154:155]
	v_add_f64 v[126:127], v[172:173], v[126:127]
	v_mul_f64 v[186:187], v[138:139], v[106:107]
	v_fma_f64 v[166:167], v[166:167], v[96:97], -v[206:207]
	v_mul_f64 v[188:189], v[136:137], v[106:107]
	v_fma_f64 v[168:169], v[168:169], v[96:97], v[208:209]
	v_add_f64 v[124:125], v[124:125], v[128:129]
	v_mul_f64 v[190:191], v[142:143], v[90:91]
	v_mul_f64 v[192:193], v[140:141], v[90:91]
	v_add_f64 v[126:127], v[126:127], v[130:131]
	v_mul_f64 v[196:197], v[144:145], v[82:83]
	v_fma_f64 v[136:137], v[136:137], v[104:105], -v[186:187]
	v_add_f64 v[174:175], v[120:121], v[166:167]
	v_add_f64 v[120:121], v[120:121], -v[166:167]
	v_add_f64 v[124:125], v[124:125], v[132:133]
	v_mul_f64 v[194:195], v[146:147], v[82:83]
	v_fma_f64 v[138:139], v[138:139], v[104:105], v[188:189]
	v_add_f64 v[176:177], v[122:123], v[168:169]
	v_add_f64 v[122:123], v[122:123], -v[168:169]
	v_add_f64 v[126:127], v[126:127], v[134:135]
	v_fma_f64 v[140:141], v[140:141], v[88:89], -v[190:191]
	v_fma_f64 v[142:143], v[142:143], v[88:89], v[192:193]
	v_fma_f64 v[146:147], v[146:147], v[80:81], v[196:197]
	v_mul_f64 v[172:173], v[120:121], s[18:19]
	v_mul_f64 v[188:189], v[120:121], s[0:1]
	;; [unrolled: 1-line block ×5, first 2 shown]
	v_add_f64 v[124:125], v[124:125], v[136:137]
	v_fma_f64 v[144:145], v[144:145], v[80:81], -v[194:195]
	v_mul_f64 v[170:171], v[122:123], s[18:19]
	v_mul_f64 v[186:187], v[122:123], s[0:1]
	;; [unrolled: 1-line block ×5, first 2 shown]
	v_add_f64 v[126:127], v[126:127], v[138:139]
	v_mul_f64 v[198:199], v[150:151], v[74:75]
	v_fma_f64 v[208:209], v[176:177], s[16:17], v[172:173]
	v_fma_f64 v[172:173], v[176:177], s[16:17], -v[172:173]
	v_fma_f64 v[212:213], v[176:177], s[4:5], v[188:189]
	v_fma_f64 v[188:189], v[176:177], s[4:5], -v[188:189]
	;; [unrolled: 2-line block ×5, first 2 shown]
	v_add_f64 v[120:121], v[124:125], v[140:141]
	v_mul_f64 v[200:201], v[148:149], v[74:75]
	v_fma_f64 v[206:207], v[174:175], s[16:17], -v[170:171]
	v_fma_f64 v[170:171], v[174:175], s[16:17], v[170:171]
	v_fma_f64 v[210:211], v[174:175], s[4:5], -v[186:187]
	v_fma_f64 v[186:187], v[174:175], s[4:5], v[186:187]
	;; [unrolled: 2-line block ×5, first 2 shown]
	v_add_f64 v[122:123], v[126:127], v[142:143]
	v_fma_f64 v[148:149], v[148:149], v[72:73], -v[198:199]
	v_add_f64 v[120:121], v[120:121], v[144:145]
	v_fma_f64 v[150:151], v[150:151], v[72:73], v[200:201]
	v_mul_f64 v[198:199], v[184:185], s[0:1]
	v_mul_f64 v[200:201], v[182:183], s[0:1]
	;; [unrolled: 1-line block ×3, first 2 shown]
	v_add_f64 v[206:207], v[112:113], v[206:207]
	v_add_f64 v[122:123], v[122:123], v[146:147]
	;; [unrolled: 1-line block ×5, first 2 shown]
	v_fma_f64 v[124:125], v[178:179], s[4:5], -v[198:199]
	v_fma_f64 v[198:199], v[178:179], s[4:5], v[198:199]
	v_add_f64 v[186:187], v[112:113], v[186:187]
	v_add_f64 v[214:215], v[112:113], v[214:215]
	;; [unrolled: 1-line block ×9, first 2 shown]
	v_mul_f64 v[174:175], v[184:185], s[34:35]
	v_mul_f64 v[204:205], v[182:183], s[20:21]
	v_fma_f64 v[126:127], v[180:181], s[4:5], v[200:201]
	v_fma_f64 v[200:201], v[180:181], s[4:5], -v[200:201]
	v_add_f64 v[208:209], v[114:115], v[208:209]
	v_add_f64 v[172:173], v[114:115], v[172:173]
	v_add_f64 v[212:213], v[114:115], v[212:213]
	v_add_f64 v[188:189], v[114:115], v[188:189]
	v_add_f64 v[216:217], v[114:115], v[216:217]
	v_add_f64 v[192:193], v[114:115], v[192:193]
	v_add_f64 v[122:123], v[122:123], v[154:155]
	v_add_f64 v[154:155], v[114:115], v[220:221]
	v_add_f64 v[196:197], v[114:115], v[196:197]
	v_add_f64 v[220:221], v[114:115], v[224:225]
	v_add_f64 v[114:115], v[114:115], v[176:177]
	v_mul_f64 v[176:177], v[182:183], s[34:35]
	v_fma_f64 v[226:227], v[178:179], s[22:23], -v[202:203]
	v_add_f64 v[120:121], v[120:121], v[166:167]
	v_add_f64 v[124:125], v[124:125], v[206:207]
	;; [unrolled: 1-line block ×3, first 2 shown]
	v_mul_f64 v[198:199], v[184:185], s[28:29]
	v_fma_f64 v[202:203], v[178:179], s[22:23], v[202:203]
	v_fma_f64 v[206:207], v[178:179], s[26:27], -v[174:175]
	v_fma_f64 v[174:175], v[178:179], s[26:27], v[174:175]
	v_mul_f64 v[184:185], v[184:185], s[30:31]
	v_fma_f64 v[228:229], v[180:181], s[22:23], v[204:205]
	v_add_f64 v[122:123], v[122:123], v[168:169]
	v_add_f64 v[126:127], v[126:127], v[208:209]
	;; [unrolled: 1-line block ×3, first 2 shown]
	v_mul_f64 v[200:201], v[182:183], s[28:29]
	v_fma_f64 v[204:205], v[180:181], s[22:23], -v[204:205]
	v_fma_f64 v[208:209], v[180:181], s[26:27], v[176:177]
	v_fma_f64 v[176:177], v[180:181], s[26:27], -v[176:177]
	v_mul_f64 v[182:183], v[182:183], s[30:31]
	v_add_f64 v[170:171], v[226:227], v[210:211]
	v_fma_f64 v[210:211], v[178:179], s[14:15], -v[198:199]
	v_add_f64 v[186:187], v[202:203], v[186:187]
	v_add_f64 v[202:203], v[206:207], v[214:215]
	;; [unrolled: 1-line block ×3, first 2 shown]
	v_add_f64 v[190:191], v[130:131], -v[150:151]
	v_fma_f64 v[198:199], v[178:179], s[14:15], v[198:199]
	v_fma_f64 v[206:207], v[178:179], s[16:17], -v[184:185]
	v_add_f64 v[172:173], v[228:229], v[212:213]
	v_fma_f64 v[212:213], v[180:181], s[14:15], v[200:201]
	v_add_f64 v[188:189], v[204:205], v[188:189]
	v_add_f64 v[204:205], v[208:209], v[216:217]
	;; [unrolled: 1-line block ×3, first 2 shown]
	v_add_f64 v[192:193], v[128:129], -v[148:149]
	v_fma_f64 v[200:201], v[180:181], s[14:15], -v[200:201]
	v_fma_f64 v[208:209], v[180:181], s[16:17], v[182:183]
	v_add_f64 v[128:129], v[128:129], v[148:149]
	v_mul_f64 v[148:149], v[190:191], s[6:7]
	v_add_f64 v[194:195], v[198:199], v[194:195]
	v_fma_f64 v[178:179], v[178:179], s[16:17], v[184:185]
	v_add_f64 v[198:199], v[206:207], v[218:219]
	v_mul_f64 v[206:207], v[190:191], s[34:35]
	v_add_f64 v[130:131], v[130:131], v[150:151]
	v_mul_f64 v[150:151], v[192:193], s[6:7]
	v_add_f64 v[196:197], v[200:201], v[196:197]
	v_fma_f64 v[180:181], v[180:181], s[16:17], -v[182:183]
	v_add_f64 v[200:201], v[208:209], v[220:221]
	v_mul_f64 v[208:209], v[192:193], s[34:35]
	v_fma_f64 v[182:183], v[128:129], s[14:15], -v[148:149]
	v_add_f64 v[112:113], v[178:179], v[112:113]
	v_fma_f64 v[148:149], v[128:129], s[14:15], v[148:149]
	v_fma_f64 v[178:179], v[128:129], s[26:27], -v[206:207]
	v_fma_f64 v[184:185], v[130:131], s[14:15], v[150:151]
	v_add_f64 v[114:115], v[180:181], v[114:115]
	v_fma_f64 v[150:151], v[130:131], s[14:15], -v[150:151]
	v_fma_f64 v[180:181], v[130:131], s[26:27], v[208:209]
	v_add_f64 v[124:125], v[182:183], v[124:125]
	v_mul_f64 v[182:183], v[190:191], s[36:37]
	v_add_f64 v[148:149], v[148:149], v[166:167]
	v_add_f64 v[166:167], v[178:179], v[170:171]
	v_fma_f64 v[170:171], v[128:129], s[26:27], v[206:207]
	v_mul_f64 v[206:207], v[190:191], s[18:19]
	v_add_f64 v[126:127], v[184:185], v[126:127]
	v_mul_f64 v[184:185], v[192:193], s[36:37]
	v_add_f64 v[150:151], v[150:151], v[168:169]
	v_add_f64 v[168:169], v[180:181], v[172:173]
	v_fma_f64 v[172:173], v[130:131], s[26:27], -v[208:209]
	v_mul_f64 v[208:209], v[192:193], s[18:19]
	v_add_f64 v[152:153], v[210:211], v[152:153]
	v_fma_f64 v[178:179], v[128:129], s[4:5], -v[182:183]
	v_fma_f64 v[182:183], v[128:129], s[4:5], v[182:183]
	v_add_f64 v[170:171], v[170:171], v[186:187]
	v_fma_f64 v[186:187], v[128:129], s[16:17], -v[206:207]
	v_add_f64 v[154:155], v[212:213], v[154:155]
	v_fma_f64 v[180:181], v[130:131], s[4:5], v[184:185]
	v_fma_f64 v[184:185], v[130:131], s[4:5], -v[184:185]
	v_add_f64 v[172:173], v[172:173], v[188:189]
	v_fma_f64 v[188:189], v[130:131], s[16:17], v[208:209]
	v_add_f64 v[174:175], v[182:183], v[174:175]
	v_mul_f64 v[182:183], v[190:191], s[20:21]
	v_add_f64 v[152:153], v[186:187], v[152:153]
	v_add_f64 v[186:187], v[134:135], -v[146:147]
	v_add_f64 v[178:179], v[178:179], v[202:203]
	v_add_f64 v[176:177], v[184:185], v[176:177]
	v_mul_f64 v[184:185], v[192:193], s[20:21]
	v_add_f64 v[154:155], v[188:189], v[154:155]
	v_add_f64 v[188:189], v[132:133], -v[144:145]
	v_fma_f64 v[190:191], v[128:129], s[16:17], v[206:207]
	v_fma_f64 v[202:203], v[128:129], s[22:23], -v[182:183]
	v_add_f64 v[132:133], v[132:133], v[144:145]
	v_mul_f64 v[144:145], v[186:187], s[20:21]
	v_add_f64 v[180:181], v[180:181], v[204:205]
	v_fma_f64 v[192:193], v[130:131], s[16:17], -v[208:209]
	v_fma_f64 v[204:205], v[130:131], s[22:23], v[184:185]
	v_add_f64 v[134:135], v[134:135], v[146:147]
	v_mul_f64 v[146:147], v[188:189], s[20:21]
	v_add_f64 v[190:191], v[190:191], v[194:195]
	v_add_f64 v[194:195], v[202:203], v[198:199]
	v_fma_f64 v[198:199], v[132:133], s[22:23], -v[144:145]
	v_fma_f64 v[144:145], v[132:133], s[22:23], v[144:145]
	v_add_f64 v[192:193], v[192:193], v[196:197]
	v_add_f64 v[196:197], v[204:205], v[200:201]
	v_fma_f64 v[128:129], v[128:129], s[22:23], v[182:183]
	v_fma_f64 v[200:201], v[134:135], s[22:23], v[146:147]
	v_fma_f64 v[146:147], v[134:135], s[22:23], -v[146:147]
	v_fma_f64 v[130:131], v[130:131], s[22:23], -v[184:185]
	v_mul_f64 v[182:183], v[186:187], s[28:29]
	v_mul_f64 v[184:185], v[188:189], s[28:29]
	v_add_f64 v[144:145], v[144:145], v[148:149]
	v_mul_f64 v[148:149], v[186:187], s[18:19]
	v_add_f64 v[112:113], v[128:129], v[112:113]
	v_add_f64 v[124:125], v[198:199], v[124:125]
	;; [unrolled: 1-line block ×3, first 2 shown]
	v_mul_f64 v[150:151], v[188:189], s[18:19]
	v_add_f64 v[114:115], v[130:131], v[114:115]
	v_fma_f64 v[128:129], v[132:133], s[14:15], -v[182:183]
	v_fma_f64 v[130:131], v[134:135], s[14:15], v[184:185]
	v_fma_f64 v[198:199], v[132:133], s[16:17], -v[148:149]
	v_fma_f64 v[148:149], v[132:133], s[16:17], v[148:149]
	v_add_f64 v[126:127], v[200:201], v[126:127]
	v_fma_f64 v[182:183], v[132:133], s[14:15], v[182:183]
	v_fma_f64 v[184:185], v[134:135], s[14:15], -v[184:185]
	v_fma_f64 v[200:201], v[134:135], s[16:17], v[150:151]
	v_fma_f64 v[150:151], v[134:135], s[16:17], -v[150:151]
	v_add_f64 v[128:129], v[128:129], v[166:167]
	v_add_f64 v[130:131], v[130:131], v[168:169]
	v_mul_f64 v[166:167], v[186:187], s[24:25]
	v_mul_f64 v[168:169], v[188:189], s[24:25]
	v_add_f64 v[148:149], v[148:149], v[174:175]
	v_add_f64 v[174:175], v[138:139], -v[142:143]
	v_add_f64 v[170:171], v[182:183], v[170:171]
	v_add_f64 v[172:173], v[184:185], v[172:173]
	;; [unrolled: 1-line block ×3, first 2 shown]
	v_add_f64 v[176:177], v[136:137], -v[140:141]
	v_mul_f64 v[182:183], v[186:187], s[36:37]
	v_mul_f64 v[184:185], v[188:189], s[36:37]
	v_fma_f64 v[202:203], v[132:133], s[26:27], -v[166:167]
	v_fma_f64 v[204:205], v[134:135], s[26:27], v[168:169]
	v_fma_f64 v[166:167], v[132:133], s[26:27], v[166:167]
	v_fma_f64 v[168:169], v[134:135], s[26:27], -v[168:169]
	v_add_f64 v[186:187], v[136:137], v[140:141]
	v_mul_f64 v[136:137], v[174:175], s[24:25]
	v_add_f64 v[188:189], v[138:139], v[142:143]
	v_mul_f64 v[138:139], v[176:177], s[24:25]
	v_fma_f64 v[140:141], v[132:133], s[4:5], -v[182:183]
	v_fma_f64 v[142:143], v[134:135], s[4:5], v[184:185]
	v_add_f64 v[166:167], v[166:167], v[190:191]
	v_add_f64 v[190:191], v[168:169], v[192:193]
	v_fma_f64 v[132:133], v[132:133], s[4:5], v[182:183]
	v_fma_f64 v[168:169], v[186:187], s[26:27], -v[136:137]
	v_fma_f64 v[134:135], v[134:135], s[4:5], -v[184:185]
	v_fma_f64 v[182:183], v[188:189], s[26:27], v[138:139]
	v_add_f64 v[184:185], v[140:141], v[194:195]
	v_add_f64 v[192:193], v[142:143], v[196:197]
	v_mul_f64 v[140:141], v[174:175], s[30:31]
	v_mul_f64 v[142:143], v[176:177], s[30:31]
	v_add_f64 v[194:195], v[132:133], v[112:113]
	v_add_f64 v[112:113], v[168:169], v[124:125]
	v_fma_f64 v[124:125], v[186:187], s[26:27], v[136:137]
	v_mul_f64 v[136:137], v[174:175], s[20:21]
	v_add_f64 v[196:197], v[134:135], v[114:115]
	v_add_f64 v[114:115], v[182:183], v[126:127]
	v_fma_f64 v[126:127], v[188:189], s[26:27], -v[138:139]
	v_fma_f64 v[132:133], v[186:187], s[16:17], -v[140:141]
	v_fma_f64 v[134:135], v[188:189], s[16:17], v[142:143]
	v_fma_f64 v[138:139], v[186:187], s[16:17], v[140:141]
	v_fma_f64 v[140:141], v[188:189], s[16:17], -v[142:143]
	v_mul_f64 v[142:143], v[176:177], s[20:21]
	v_add_f64 v[178:179], v[198:199], v[178:179]
	v_add_f64 v[124:125], v[124:125], v[144:145]
	v_fma_f64 v[144:145], v[186:187], s[22:23], -v[136:137]
	v_add_f64 v[126:127], v[126:127], v[146:147]
	v_add_f64 v[128:129], v[132:133], v[128:129]
	;; [unrolled: 1-line block ×5, first 2 shown]
	v_fma_f64 v[138:139], v[188:189], s[22:23], v[142:143]
	v_fma_f64 v[140:141], v[186:187], s[22:23], v[136:137]
	v_fma_f64 v[142:143], v[188:189], s[22:23], -v[142:143]
	v_mul_f64 v[146:147], v[174:175], s[36:37]
	v_mul_f64 v[168:169], v[176:177], s[36:37]
	v_add_f64 v[136:137], v[144:145], v[178:179]
	v_mul_f64 v[144:145], v[174:175], s[6:7]
	v_mul_f64 v[170:171], v[176:177], s[6:7]
	v_add_f64 v[180:181], v[200:201], v[180:181]
	v_add_f64 v[152:153], v[202:203], v[152:153]
	;; [unrolled: 1-line block ×5, first 2 shown]
	v_fma_f64 v[148:149], v[186:187], s[4:5], -v[146:147]
	v_fma_f64 v[150:151], v[188:189], s[4:5], v[168:169]
	v_fma_f64 v[174:175], v[186:187], s[14:15], -v[144:145]
	v_fma_f64 v[176:177], v[188:189], s[14:15], v[170:171]
	v_fma_f64 v[172:173], v[186:187], s[4:5], v[146:147]
	;; [unrolled: 1-line block ×3, first 2 shown]
	v_fma_f64 v[170:171], v[188:189], s[14:15], -v[170:171]
	v_add_f64 v[138:139], v[138:139], v[180:181]
	v_fma_f64 v[180:181], v[188:189], s[4:5], -v[168:169]
	v_add_f64 v[144:145], v[148:149], v[152:153]
	v_add_f64 v[146:147], v[150:151], v[154:155]
	;; [unrolled: 1-line block ×8, first 2 shown]
	ds_write_b128 v158, v[120:123]
	ds_write_b128 v158, v[112:115] offset:352
	ds_write_b128 v158, v[128:131] offset:704
	;; [unrolled: 1-line block ×10, first 2 shown]
	s_waitcnt lgkmcnt(0)
	s_barrier
	global_load_dwordx4 v[112:115], v[116:117], off offset:3872
	global_load_dwordx4 v[120:123], v118, s[12:13] offset:352
	global_load_dwordx4 v[124:127], v118, s[12:13] offset:704
	;; [unrolled: 1-line block ×10, first 2 shown]
	ds_read_b128 v[170:173], v158
	ds_read_b128 v[174:177], v158 offset:352
	ds_read_b128 v[178:181], v158 offset:704
	s_mov_b32 s13, 0x3fe82f19
	s_mov_b32 s12, s20
	s_waitcnt vmcnt(9) lgkmcnt(1)
	v_mul_f64 v[186:187], v[176:177], v[122:123]
	v_mul_f64 v[122:123], v[174:175], v[122:123]
	;; [unrolled: 1-line block ×4, first 2 shown]
	ds_read_b128 v[114:117], v158 offset:1056
	s_waitcnt vmcnt(8) lgkmcnt(1)
	v_mul_f64 v[188:189], v[180:181], v[126:127]
	v_mul_f64 v[126:127], v[178:179], v[126:127]
	v_fma_f64 v[174:175], v[174:175], v[120:121], -v[186:187]
	v_fma_f64 v[176:177], v[176:177], v[120:121], v[122:123]
	v_fma_f64 v[170:171], v[170:171], v[112:113], -v[182:183]
	v_fma_f64 v[172:173], v[172:173], v[112:113], v[184:185]
	ds_write_b128 v158, v[170:173]
	ds_write_b128 v158, v[174:177] offset:352
	v_fma_f64 v[120:121], v[178:179], v[124:125], -v[188:189]
	v_fma_f64 v[122:123], v[180:181], v[124:125], v[126:127]
	ds_read_b128 v[124:127], v158 offset:1408
	ds_read_b128 v[170:173], v158 offset:2112
	;; [unrolled: 1-line block ×3, first 2 shown]
	s_waitcnt vmcnt(7) lgkmcnt(5)
	v_mul_f64 v[112:113], v[116:117], v[130:131]
	v_mul_f64 v[130:131], v[114:115], v[130:131]
	s_waitcnt vmcnt(4) lgkmcnt(1)
	v_mul_f64 v[182:183], v[172:173], v[142:143]
	ds_write_b128 v158, v[120:123] offset:704
	ds_read_b128 v[120:123], v158 offset:1760
	v_mul_f64 v[178:179], v[126:127], v[134:135]
	v_mul_f64 v[134:135], v[124:125], v[134:135]
	v_mul_f64 v[142:143], v[170:171], v[142:143]
	v_fma_f64 v[112:113], v[114:115], v[128:129], -v[112:113]
	s_waitcnt lgkmcnt(0)
	v_mul_f64 v[180:181], v[122:123], v[138:139]
	v_mul_f64 v[138:139], v[120:121], v[138:139]
	v_fma_f64 v[114:115], v[116:117], v[128:129], v[130:131]
	v_fma_f64 v[128:129], v[170:171], v[140:141], -v[182:183]
	v_fma_f64 v[124:125], v[124:125], v[132:133], -v[178:179]
	v_fma_f64 v[126:127], v[126:127], v[132:133], v[134:135]
	ds_read_b128 v[132:135], v158 offset:2816
	v_fma_f64 v[130:131], v[172:173], v[140:141], v[142:143]
	v_fma_f64 v[120:121], v[120:121], v[136:137], -v[180:181]
	v_fma_f64 v[122:123], v[122:123], v[136:137], v[138:139]
	ds_read_b128 v[136:139], v158 offset:3168
	ds_read_b128 v[140:143], v158 offset:3520
	s_waitcnt vmcnt(3)
	v_mul_f64 v[116:117], v[176:177], v[146:147]
	v_mul_f64 v[146:147], v[174:175], v[146:147]
	s_waitcnt vmcnt(2) lgkmcnt(2)
	v_mul_f64 v[172:173], v[134:135], v[150:151]
	v_mul_f64 v[150:151], v[132:133], v[150:151]
	s_waitcnt vmcnt(1) lgkmcnt(1)
	;; [unrolled: 3-line block ×3, first 2 shown]
	v_mul_f64 v[180:181], v[142:143], v[168:169]
	v_mul_f64 v[182:183], v[140:141], v[168:169]
	v_fma_f64 v[168:169], v[174:175], v[144:145], -v[116:117]
	v_fma_f64 v[170:171], v[176:177], v[144:145], v[146:147]
	v_fma_f64 v[132:133], v[132:133], v[148:149], -v[172:173]
	v_fma_f64 v[134:135], v[134:135], v[148:149], v[150:151]
	;; [unrolled: 2-line block ×4, first 2 shown]
	ds_write_b128 v158, v[112:115] offset:1056
	ds_write_b128 v158, v[124:127] offset:1408
	;; [unrolled: 1-line block ×8, first 2 shown]
	s_waitcnt lgkmcnt(0)
	s_barrier
	ds_read_b128 v[112:115], v158
	ds_read_b128 v[120:123], v158 offset:352
	ds_read_b128 v[124:127], v158 offset:704
	ds_read_b128 v[128:131], v158 offset:1056
	s_waitcnt lgkmcnt(2)
	v_add_f64 v[132:133], v[114:115], v[122:123]
	v_add_f64 v[116:117], v[112:113], v[120:121]
	s_waitcnt lgkmcnt(1)
	v_add_f64 v[132:133], v[132:133], v[126:127]
	v_add_f64 v[116:117], v[116:117], v[124:125]
	s_waitcnt lgkmcnt(0)
	v_add_f64 v[140:141], v[132:133], v[130:131]
	ds_read_b128 v[132:135], v158 offset:1408
	ds_read_b128 v[136:139], v158 offset:1760
	v_add_f64 v[116:117], v[116:117], v[128:129]
	s_waitcnt lgkmcnt(1)
	v_add_f64 v[140:141], v[140:141], v[134:135]
	v_add_f64 v[116:117], v[116:117], v[132:133]
	s_waitcnt lgkmcnt(0)
	v_add_f64 v[148:149], v[140:141], v[138:139]
	ds_read_b128 v[140:143], v158 offset:2112
	ds_read_b128 v[144:147], v158 offset:2464
	v_add_f64 v[116:117], v[116:117], v[136:137]
	ds_read_b128 v[166:169], v158 offset:3168
	s_waitcnt lgkmcnt(2)
	v_add_f64 v[152:153], v[148:149], v[142:143]
	ds_read_b128 v[148:151], v158 offset:3520
	v_add_f64 v[116:117], v[116:117], v[140:141]
	s_waitcnt lgkmcnt(1)
	v_add_f64 v[204:205], v[126:127], -v[168:169]
	v_add_f64 v[126:127], v[126:127], v[168:169]
	v_add_f64 v[208:209], v[124:125], v[166:167]
	s_waitcnt lgkmcnt(0)
	v_add_f64 v[174:175], v[122:123], v[150:151]
	v_add_f64 v[172:173], v[122:123], -v[150:151]
	v_add_f64 v[170:171], v[152:153], v[146:147]
	ds_read_b128 v[152:155], v158 offset:2816
	v_add_f64 v[176:177], v[120:121], -v[148:149]
	v_add_f64 v[116:117], v[116:117], v[144:145]
	v_add_f64 v[124:125], v[124:125], -v[166:167]
	v_mul_f64 v[210:211], v[126:127], s[4:5]
	v_mul_f64 v[180:181], v[174:175], s[16:17]
	;; [unrolled: 1-line block ×3, first 2 shown]
	s_waitcnt lgkmcnt(0)
	v_add_f64 v[122:123], v[170:171], v[154:155]
	v_add_f64 v[170:171], v[120:121], v[148:149]
	v_mul_f64 v[198:199], v[174:175], s[22:23]
	v_add_f64 v[116:117], v[116:117], v[152:153]
	v_mul_f64 v[178:179], v[172:173], s[18:19]
	v_mul_f64 v[186:187], v[172:173], s[0:1]
	v_fma_f64 v[184:185], v[176:177], s[30:31], v[180:181]
	v_mul_f64 v[188:189], v[174:175], s[4:5]
	v_add_f64 v[122:123], v[122:123], v[168:169]
	v_mul_f64 v[190:191], v[174:175], s[14:15]
	v_fma_f64 v[200:201], v[170:171], s[22:23], v[196:197]
	v_fma_f64 v[202:203], v[176:177], s[12:13], v[198:199]
	v_fma_f64 v[196:197], v[170:171], s[22:23], -v[196:197]
	v_fma_f64 v[198:199], v[176:177], s[20:21], v[198:199]
	v_mul_f64 v[174:175], v[174:175], s[26:27]
	v_add_f64 v[116:117], v[116:117], v[166:167]
	v_add_f64 v[122:123], v[122:123], v[150:151]
	;; [unrolled: 1-line block ×3, first 2 shown]
	v_mul_f64 v[184:185], v[172:173], s[6:7]
	v_mul_f64 v[172:173], v[172:173], s[24:25]
	v_fma_f64 v[182:183], v[170:171], s[16:17], v[178:179]
	v_add_f64 v[168:169], v[112:113], v[196:197]
	v_add_f64 v[196:197], v[114:115], v[198:199]
	v_fma_f64 v[206:207], v[176:177], s[34:35], v[174:175]
	v_add_f64 v[120:121], v[116:117], v[148:149]
	v_fma_f64 v[116:117], v[170:171], s[16:17], -v[178:179]
	v_fma_f64 v[178:179], v[176:177], s[18:19], v[180:181]
	v_fma_f64 v[198:199], v[170:171], s[26:27], v[172:173]
	v_add_f64 v[148:149], v[112:113], v[182:183]
	v_fma_f64 v[180:181], v[170:171], s[4:5], v[186:187]
	v_fma_f64 v[182:183], v[176:177], s[36:37], v[188:189]
	v_fma_f64 v[186:187], v[170:171], s[4:5], -v[186:187]
	v_fma_f64 v[188:189], v[176:177], s[0:1], v[188:189]
	v_fma_f64 v[192:193], v[170:171], s[14:15], v[184:185]
	v_fma_f64 v[194:195], v[176:177], s[28:29], v[190:191]
	v_fma_f64 v[184:185], v[170:171], s[14:15], -v[184:185]
	v_fma_f64 v[190:191], v[176:177], s[6:7], v[190:191]
	v_mul_f64 v[166:167], v[204:205], s[0:1]
	v_fma_f64 v[170:171], v[170:171], s[26:27], -v[172:173]
	v_fma_f64 v[172:173], v[176:177], s[24:25], v[174:175]
	v_add_f64 v[174:175], v[112:113], v[198:199]
	v_add_f64 v[176:177], v[114:115], v[206:207]
	v_mul_f64 v[198:199], v[204:205], s[20:21]
	v_mul_f64 v[206:207], v[126:127], s[22:23]
	v_fma_f64 v[214:215], v[124:125], s[36:37], v[210:211]
	v_add_f64 v[116:117], v[112:113], v[116:117]
	v_add_f64 v[178:179], v[114:115], v[178:179]
	;; [unrolled: 1-line block ×12, first 2 shown]
	v_fma_f64 v[212:213], v[208:209], s[4:5], v[166:167]
	v_add_f64 v[112:113], v[112:113], v[170:171]
	v_add_f64 v[114:115], v[114:115], v[172:173]
	v_fma_f64 v[166:167], v[208:209], s[4:5], -v[166:167]
	v_fma_f64 v[170:171], v[124:125], s[0:1], v[210:211]
	v_fma_f64 v[172:173], v[208:209], s[22:23], v[198:199]
	;; [unrolled: 1-line block ×3, first 2 shown]
	v_add_f64 v[150:151], v[214:215], v[150:151]
	v_mul_f64 v[214:215], v[126:127], s[26:27]
	v_add_f64 v[148:149], v[212:213], v[148:149]
	v_mul_f64 v[212:213], v[204:205], s[34:35]
	v_add_f64 v[116:117], v[166:167], v[116:117]
	v_add_f64 v[166:167], v[170:171], v[178:179]
	;; [unrolled: 1-line block ×4, first 2 shown]
	v_fma_f64 v[178:179], v[208:209], s[22:23], -v[198:199]
	v_fma_f64 v[180:181], v[124:125], s[20:21], v[206:207]
	v_fma_f64 v[198:199], v[124:125], s[24:25], v[214:215]
	v_mul_f64 v[206:207], v[204:205], s[28:29]
	v_mul_f64 v[210:211], v[126:127], s[14:15]
	v_fma_f64 v[182:183], v[208:209], s[26:27], v[212:213]
	v_mul_f64 v[204:205], v[204:205], s[30:31]
	v_mul_f64 v[126:127], v[126:127], s[16:17]
	v_add_f64 v[178:179], v[178:179], v[186:187]
	v_add_f64 v[180:181], v[180:181], v[188:189]
	;; [unrolled: 1-line block ×3, first 2 shown]
	v_fma_f64 v[188:189], v[208:209], s[14:15], v[206:207]
	v_fma_f64 v[194:195], v[208:209], s[14:15], -v[206:207]
	v_fma_f64 v[198:199], v[124:125], s[28:29], v[210:211]
	v_add_f64 v[182:183], v[182:183], v[192:193]
	v_fma_f64 v[192:193], v[124:125], s[6:7], v[210:211]
	v_fma_f64 v[214:215], v[124:125], s[34:35], v[214:215]
	v_fma_f64 v[212:213], v[208:209], s[26:27], -v[212:213]
	v_add_f64 v[188:189], v[188:189], v[200:201]
	v_add_f64 v[200:201], v[130:131], -v[154:155]
	v_add_f64 v[130:131], v[130:131], v[154:155]
	v_add_f64 v[154:155], v[194:195], v[168:169]
	;; [unrolled: 1-line block ×3, first 2 shown]
	v_fma_f64 v[194:195], v[208:209], s[16:17], v[204:205]
	v_fma_f64 v[196:197], v[124:125], s[18:19], v[126:127]
	v_add_f64 v[192:193], v[192:193], v[202:203]
	v_add_f64 v[198:199], v[128:129], v[152:153]
	v_add_f64 v[128:129], v[128:129], -v[152:153]
	v_mul_f64 v[152:153], v[200:201], s[6:7]
	v_mul_f64 v[202:203], v[130:131], s[14:15]
	v_fma_f64 v[204:205], v[208:209], s[16:17], -v[204:205]
	v_fma_f64 v[124:125], v[124:125], s[30:31], v[126:127]
	v_add_f64 v[126:127], v[194:195], v[174:175]
	v_add_f64 v[174:175], v[196:197], v[176:177]
	v_mul_f64 v[176:177], v[200:201], s[34:35]
	v_mul_f64 v[194:195], v[130:131], s[26:27]
	v_fma_f64 v[196:197], v[198:199], s[14:15], v[152:153]
	v_fma_f64 v[206:207], v[128:129], s[28:29], v[202:203]
	v_add_f64 v[112:113], v[204:205], v[112:113]
	v_add_f64 v[114:115], v[124:125], v[114:115]
	v_fma_f64 v[124:125], v[198:199], s[14:15], -v[152:153]
	v_fma_f64 v[152:153], v[128:129], s[6:7], v[202:203]
	v_fma_f64 v[202:203], v[198:199], s[26:27], v[176:177]
	;; [unrolled: 1-line block ×3, first 2 shown]
	v_add_f64 v[148:149], v[196:197], v[148:149]
	v_add_f64 v[150:151], v[206:207], v[150:151]
	v_mul_f64 v[196:197], v[200:201], s[36:37]
	v_mul_f64 v[206:207], v[130:131], s[4:5]
	v_add_f64 v[116:117], v[124:125], v[116:117]
	v_add_f64 v[124:125], v[152:153], v[166:167]
	;; [unrolled: 1-line block ×4, first 2 shown]
	v_fma_f64 v[172:173], v[128:129], s[34:35], v[194:195]
	v_mul_f64 v[202:203], v[200:201], s[18:19]
	v_add_f64 v[184:185], v[212:213], v[184:185]
	v_add_f64 v[190:191], v[214:215], v[190:191]
	v_fma_f64 v[170:171], v[198:199], s[26:27], -v[176:177]
	v_fma_f64 v[176:177], v[198:199], s[4:5], v[196:197]
	v_fma_f64 v[194:195], v[128:129], s[0:1], v[206:207]
	v_mul_f64 v[204:205], v[130:131], s[16:17]
	v_fma_f64 v[196:197], v[198:199], s[4:5], -v[196:197]
	v_fma_f64 v[206:207], v[128:129], s[36:37], v[206:207]
	v_add_f64 v[172:173], v[172:173], v[180:181]
	v_fma_f64 v[180:181], v[198:199], s[16:17], v[202:203]
	v_add_f64 v[170:171], v[170:171], v[178:179]
	v_add_f64 v[176:177], v[176:177], v[182:183]
	v_add_f64 v[178:179], v[194:195], v[186:187]
	v_fma_f64 v[182:183], v[128:129], s[30:31], v[204:205]
	v_add_f64 v[184:185], v[196:197], v[184:185]
	v_add_f64 v[186:187], v[206:207], v[190:191]
	v_mul_f64 v[190:191], v[200:201], s[20:21]
	v_mul_f64 v[130:131], v[130:131], s[22:23]
	v_fma_f64 v[194:195], v[198:199], s[16:17], -v[202:203]
	v_fma_f64 v[196:197], v[128:129], s[18:19], v[204:205]
	v_add_f64 v[180:181], v[180:181], v[188:189]
	v_add_f64 v[188:189], v[134:135], -v[146:147]
	v_add_f64 v[134:135], v[134:135], v[146:147]
	v_add_f64 v[182:183], v[182:183], v[192:193]
	v_fma_f64 v[146:147], v[198:199], s[22:23], v[190:191]
	v_fma_f64 v[192:193], v[128:129], s[12:13], v[130:131]
	v_add_f64 v[154:155], v[194:195], v[154:155]
	v_add_f64 v[168:169], v[196:197], v[168:169]
	;; [unrolled: 1-line block ×3, first 2 shown]
	v_add_f64 v[132:133], v[132:133], -v[144:145]
	v_mul_f64 v[144:145], v[188:189], s[20:21]
	v_mul_f64 v[196:197], v[134:135], s[22:23]
	v_add_f64 v[126:127], v[146:147], v[126:127]
	v_add_f64 v[146:147], v[192:193], v[174:175]
	v_fma_f64 v[174:175], v[198:199], s[22:23], -v[190:191]
	v_fma_f64 v[128:129], v[128:129], s[20:21], v[130:131]
	v_mul_f64 v[130:131], v[188:189], s[28:29]
	v_mul_f64 v[190:191], v[134:135], s[14:15]
	v_fma_f64 v[192:193], v[194:195], s[22:23], v[144:145]
	v_fma_f64 v[198:199], v[132:133], s[12:13], v[196:197]
	v_fma_f64 v[144:145], v[194:195], s[22:23], -v[144:145]
	v_fma_f64 v[196:197], v[132:133], s[20:21], v[196:197]
	v_add_f64 v[112:113], v[174:175], v[112:113]
	v_add_f64 v[114:115], v[128:129], v[114:115]
	v_fma_f64 v[128:129], v[194:195], s[14:15], v[130:131]
	v_fma_f64 v[174:175], v[132:133], s[6:7], v[190:191]
	v_add_f64 v[148:149], v[192:193], v[148:149]
	v_mul_f64 v[192:193], v[134:135], s[16:17]
	v_add_f64 v[116:117], v[144:145], v[116:117]
	v_add_f64 v[144:145], v[196:197], v[124:125]
	v_mul_f64 v[124:125], v[188:189], s[18:19]
	v_fma_f64 v[130:131], v[194:195], s[14:15], -v[130:131]
	v_fma_f64 v[190:191], v[132:133], s[28:29], v[190:191]
	v_add_f64 v[150:151], v[198:199], v[150:151]
	v_add_f64 v[128:129], v[128:129], v[152:153]
	;; [unrolled: 1-line block ×3, first 2 shown]
	v_mul_f64 v[166:167], v[188:189], s[24:25]
	v_mul_f64 v[174:175], v[134:135], s[26:27]
	v_fma_f64 v[196:197], v[194:195], s[16:17], v[124:125]
	v_fma_f64 v[124:125], v[194:195], s[16:17], -v[124:125]
	v_fma_f64 v[198:199], v[132:133], s[30:31], v[192:193]
	v_fma_f64 v[192:193], v[132:133], s[18:19], v[192:193]
	v_add_f64 v[170:171], v[130:131], v[170:171]
	v_add_f64 v[172:173], v[190:191], v[172:173]
	v_add_f64 v[190:191], v[138:139], -v[142:143]
	v_mul_f64 v[130:131], v[134:135], s[4:5]
	v_add_f64 v[142:143], v[138:139], v[142:143]
	v_add_f64 v[184:185], v[124:125], v[184:185]
	v_mul_f64 v[124:125], v[188:189], s[36:37]
	v_fma_f64 v[200:201], v[194:195], s[26:27], v[166:167]
	v_fma_f64 v[202:203], v[132:133], s[34:35], v[174:175]
	v_add_f64 v[186:187], v[192:193], v[186:187]
	v_fma_f64 v[134:135], v[194:195], s[26:27], -v[166:167]
	v_fma_f64 v[138:139], v[132:133], s[24:25], v[174:175]
	v_add_f64 v[166:167], v[136:137], v[140:141]
	v_add_f64 v[174:175], v[136:137], -v[140:141]
	v_mul_f64 v[136:137], v[190:191], s[24:25]
	v_fma_f64 v[192:193], v[132:133], s[0:1], v[130:131]
	v_mul_f64 v[140:141], v[142:143], s[26:27]
	v_fma_f64 v[188:189], v[194:195], s[4:5], v[124:125]
	v_fma_f64 v[124:125], v[194:195], s[4:5], -v[124:125]
	v_fma_f64 v[130:131], v[132:133], s[36:37], v[130:131]
	v_add_f64 v[168:169], v[138:139], v[168:169]
	v_mul_f64 v[138:139], v[190:191], s[30:31]
	v_fma_f64 v[132:133], v[166:167], s[26:27], v[136:137]
	v_add_f64 v[192:193], v[192:193], v[146:147]
	v_mul_f64 v[146:147], v[142:143], s[16:17]
	v_add_f64 v[176:177], v[196:197], v[176:177]
	v_add_f64 v[154:155], v[134:135], v[154:155]
	v_fma_f64 v[134:135], v[174:175], s[34:35], v[140:141]
	v_add_f64 v[194:195], v[124:125], v[112:113]
	v_add_f64 v[196:197], v[130:131], v[114:115]
	v_fma_f64 v[112:113], v[166:167], s[26:27], -v[136:137]
	v_fma_f64 v[114:115], v[174:175], s[24:25], v[140:141]
	v_mul_f64 v[136:137], v[190:191], s[20:21]
	v_mul_f64 v[140:141], v[142:143], s[22:23]
	v_add_f64 v[124:125], v[132:133], v[148:149]
	v_fma_f64 v[130:131], v[166:167], s[16:17], v[138:139]
	v_fma_f64 v[132:133], v[174:175], s[18:19], v[146:147]
	v_add_f64 v[178:179], v[198:199], v[178:179]
	v_add_f64 v[188:189], v[188:189], v[126:127]
	v_add_f64 v[126:127], v[134:135], v[150:151]
	v_fma_f64 v[134:135], v[166:167], s[16:17], -v[138:139]
	v_fma_f64 v[138:139], v[174:175], s[30:31], v[146:147]
	v_add_f64 v[112:113], v[112:113], v[116:117]
	v_add_f64 v[114:115], v[114:115], v[144:145]
	v_fma_f64 v[116:117], v[166:167], s[22:23], v[136:137]
	v_fma_f64 v[144:145], v[174:175], s[12:13], v[140:141]
	v_add_f64 v[128:129], v[130:131], v[128:129]
	v_add_f64 v[130:131], v[132:133], v[152:153]
	v_fma_f64 v[146:147], v[166:167], s[22:23], -v[136:137]
	v_fma_f64 v[148:149], v[174:175], s[20:21], v[140:141]
	v_mul_f64 v[150:151], v[190:191], s[36:37]
	v_mul_f64 v[152:153], v[142:143], s[4:5]
	v_add_f64 v[132:133], v[134:135], v[170:171]
	v_add_f64 v[134:135], v[138:139], v[172:173]
	v_add_f64 v[136:137], v[116:117], v[176:177]
	v_add_f64 v[138:139], v[144:145], v[178:179]
	v_mul_f64 v[116:117], v[190:191], s[6:7]
	v_mul_f64 v[144:145], v[142:143], s[14:15]
	v_add_f64 v[180:181], v[200:201], v[180:181]
	v_add_f64 v[182:183], v[202:203], v[182:183]
	;; [unrolled: 1-line block ×4, first 2 shown]
	v_fma_f64 v[146:147], v[166:167], s[4:5], v[150:151]
	v_fma_f64 v[148:149], v[174:175], s[0:1], v[152:153]
	v_fma_f64 v[150:151], v[166:167], s[4:5], -v[150:151]
	v_fma_f64 v[152:153], v[174:175], s[36:37], v[152:153]
	v_fma_f64 v[170:171], v[166:167], s[14:15], v[116:117]
	v_fma_f64 v[172:173], v[174:175], s[28:29], v[144:145]
	v_fma_f64 v[116:117], v[166:167], s[14:15], -v[116:117]
	v_fma_f64 v[174:175], v[174:175], s[6:7], v[144:145]
	v_add_f64 v[144:145], v[146:147], v[180:181]
	v_add_f64 v[146:147], v[148:149], v[182:183]
	;; [unrolled: 1-line block ×8, first 2 shown]
	s_barrier
	ds_write_b128 v119, v[120:123]
	ds_write_b128 v119, v[124:127] offset:16
	ds_write_b128 v119, v[128:131] offset:32
	;; [unrolled: 1-line block ×10, first 2 shown]
	s_waitcnt lgkmcnt(0)
	s_barrier
	ds_read_b128 v[132:135], v158
	ds_read_b128 v[120:123], v158 offset:352
	ds_read_b128 v[148:151], v158 offset:2288
	;; [unrolled: 1-line block ×9, first 2 shown]
	s_and_saveexec_b64 s[0:1], vcc
	s_cbranch_execz .LBB0_7
; %bb.6:
	ds_read_b128 v[112:115], v158 offset:1760
	ds_read_b128 v[64:67], v158 offset:3696
.LBB0_7:
	s_or_b64 exec, exec, s[0:1]
	s_waitcnt lgkmcnt(3)
	v_mul_f64 v[166:167], v[54:55], v[154:155]
	v_mul_f64 v[54:55], v[54:55], v[152:153]
	;; [unrolled: 1-line block ×6, first 2 shown]
	s_waitcnt lgkmcnt(1)
	v_mul_f64 v[172:173], v[58:59], v[146:147]
	s_waitcnt lgkmcnt(0)
	v_fma_f64 v[152:153], v[52:53], v[152:153], v[166:167]
	v_fma_f64 v[52:53], v[52:53], v[154:155], -v[54:55]
	v_mul_f64 v[54:55], v[58:59], v[144:145]
	v_mul_f64 v[58:59], v[70:71], v[142:143]
	;; [unrolled: 1-line block ×3, first 2 shown]
	v_fma_f64 v[148:149], v[48:49], v[148:149], v[168:169]
	v_fma_f64 v[150:151], v[48:49], v[150:151], -v[50:51]
	v_fma_f64 v[136:137], v[60:61], v[136:137], v[170:171]
	v_fma_f64 v[62:63], v[60:61], v[138:139], -v[62:63]
	;; [unrolled: 2-line block ×3, first 2 shown]
	v_add_f64 v[48:49], v[132:133], -v[152:153]
	v_add_f64 v[50:51], v[134:135], -v[52:53]
	v_fma_f64 v[140:141], v[68:69], v[140:141], v[58:59]
	v_fma_f64 v[142:143], v[68:69], v[142:143], -v[70:71]
	v_add_f64 v[52:53], v[120:121], -v[148:149]
	v_add_f64 v[54:55], v[122:123], -v[150:151]
	;; [unrolled: 1-line block ×6, first 2 shown]
	v_fma_f64 v[56:57], v[132:133], 2.0, -v[48:49]
	v_fma_f64 v[58:59], v[134:135], 2.0, -v[50:51]
	v_add_f64 v[132:133], v[116:117], -v[140:141]
	v_add_f64 v[134:135], v[118:119], -v[142:143]
	v_fma_f64 v[120:121], v[120:121], 2.0, -v[52:53]
	v_fma_f64 v[122:123], v[122:123], 2.0, -v[54:55]
	;; [unrolled: 1-line block ×8, first 2 shown]
	s_barrier
	ds_write_b128 v161, v[56:59]
	ds_write_b128 v161, v[48:51] offset:176
	ds_write_b128 v162, v[120:123]
	ds_write_b128 v162, v[52:55] offset:176
	;; [unrolled: 2-line block ×5, first 2 shown]
	s_and_saveexec_b64 s[0:1], vcc
	s_cbranch_execz .LBB0_9
; %bb.8:
	v_mul_f64 v[48:49], v[46:47], v[64:65]
	v_mul_f64 v[46:47], v[46:47], v[66:67]
	v_and_b32_e32 v52, 0xff, v160
	v_lshl_add_u32 v52, v52, 4, v159
	v_fma_f64 v[48:49], v[44:45], v[66:67], -v[48:49]
	v_fma_f64 v[44:45], v[44:45], v[64:65], v[46:47]
	v_add_f64 v[46:47], v[114:115], -v[48:49]
	v_add_f64 v[44:45], v[112:113], -v[44:45]
	v_fma_f64 v[50:51], v[114:115], 2.0, -v[46:47]
	v_fma_f64 v[48:49], v[112:113], 2.0, -v[44:45]
	ds_write_b128 v52, v[48:51] offset:3520
	ds_write_b128 v52, v[44:47] offset:3696
.LBB0_9:
	s_or_b64 exec, exec, s[0:1]
	s_waitcnt lgkmcnt(0)
	s_barrier
	ds_read_b128 v[44:47], v158 offset:352
	ds_read_b128 v[48:51], v158 offset:704
	;; [unrolled: 1-line block ×3, first 2 shown]
	s_mov_b32 s12, 0xf8bb580b
	s_mov_b32 s6, 0x8764f0ba
	s_waitcnt lgkmcnt(2)
	v_mul_f64 v[56:57], v[110:111], v[46:47]
	v_mul_f64 v[58:59], v[110:111], v[44:45]
	s_waitcnt lgkmcnt(1)
	v_mul_f64 v[60:61], v[102:103], v[50:51]
	v_mul_f64 v[62:63], v[102:103], v[48:49]
	s_mov_b32 s0, 0x8eee2c13
	s_mov_b32 s16, 0x43842ef
	;; [unrolled: 1-line block ×4, first 2 shown]
	v_fma_f64 v[102:103], v[108:109], v[44:45], v[56:57]
	v_fma_f64 v[108:109], v[108:109], v[46:47], -v[58:59]
	ds_read_b128 v[56:59], v158
	s_waitcnt lgkmcnt(1)
	v_mul_f64 v[64:65], v[86:87], v[54:55]
	v_mul_f64 v[66:67], v[86:87], v[52:53]
	v_fma_f64 v[86:87], v[100:101], v[48:49], v[60:61]
	v_fma_f64 v[100:101], v[100:101], v[50:51], -v[62:63]
	ds_read_b128 v[44:47], v158 offset:1408
	ds_read_b128 v[48:51], v158 offset:1760
	s_waitcnt lgkmcnt(2)
	v_add_f64 v[62:63], v[58:59], v[108:109]
	v_add_f64 v[60:61], v[56:57], v[102:103]
	s_mov_b32 s13, 0xbfe14ced
	s_waitcnt lgkmcnt(1)
	v_mul_f64 v[68:69], v[78:79], v[46:47]
	v_mul_f64 v[70:71], v[78:79], v[44:45]
	v_fma_f64 v[78:79], v[84:85], v[52:53], v[64:65]
	v_fma_f64 v[84:85], v[84:85], v[54:55], -v[66:67]
	s_waitcnt lgkmcnt(0)
	v_mul_f64 v[110:111], v[106:107], v[50:51]
	v_add_f64 v[66:67], v[62:63], v[100:101]
	v_add_f64 v[64:65], v[60:61], v[86:87]
	v_mul_f64 v[106:107], v[106:107], v[48:49]
	v_fma_f64 v[112:113], v[76:77], v[44:45], v[68:69]
	v_fma_f64 v[76:77], v[76:77], v[46:47], -v[70:71]
	ds_read_b128 v[52:55], v158 offset:2112
	ds_read_b128 v[60:63], v158 offset:2464
	s_mov_b32 s7, 0x3feaeb8c
	v_fma_f64 v[48:49], v[104:105], v[48:49], v[110:111]
	v_add_f64 v[116:117], v[66:67], v[84:85]
	v_add_f64 v[114:115], v[64:65], v[78:79]
	s_waitcnt lgkmcnt(1)
	v_mul_f64 v[118:119], v[90:91], v[54:55]
	v_mul_f64 v[90:91], v[90:91], v[52:53]
	v_fma_f64 v[50:51], v[104:105], v[50:51], -v[106:107]
	s_waitcnt lgkmcnt(0)
	v_mul_f64 v[110:111], v[82:83], v[62:63]
	v_mul_f64 v[82:83], v[82:83], v[60:61]
	ds_read_b128 v[44:47], v158 offset:2816
	ds_read_b128 v[64:67], v158 offset:3168
	;; [unrolled: 1-line block ×3, first 2 shown]
	v_add_f64 v[106:107], v[116:117], v[76:77]
	v_add_f64 v[104:105], v[114:115], v[112:113]
	v_fma_f64 v[52:53], v[88:89], v[52:53], v[118:119]
	v_fma_f64 v[54:55], v[88:89], v[54:55], -v[90:91]
	s_mov_b32 s1, 0xbfed1bb4
	v_fma_f64 v[60:61], v[80:81], v[60:61], v[110:111]
	v_fma_f64 v[62:63], v[80:81], v[62:63], -v[82:83]
	s_mov_b32 s17, 0xbfefac9e
	v_add_f64 v[90:91], v[106:107], v[50:51]
	v_add_f64 v[88:89], v[104:105], v[48:49]
	s_waitcnt lgkmcnt(0)
	v_mul_f64 v[104:105], v[98:99], v[68:69]
	v_mul_f64 v[106:107], v[74:75], v[46:47]
	;; [unrolled: 1-line block ×3, first 2 shown]
	s_mov_b32 s25, 0xbfe82f19
	s_mov_b32 s31, 0xbfd207e7
	;; [unrolled: 1-line block ×3, first 2 shown]
	v_add_f64 v[82:83], v[90:91], v[54:55]
	v_add_f64 v[80:81], v[88:89], v[52:53]
	v_mul_f64 v[88:89], v[98:99], v[70:71]
	v_fma_f64 v[70:71], v[96:97], v[70:71], -v[104:105]
	v_mul_f64 v[90:91], v[94:95], v[66:67]
	v_mul_f64 v[94:95], v[94:95], v[64:65]
	v_fma_f64 v[98:99], v[72:73], v[44:45], v[106:107]
	v_fma_f64 v[72:73], v[72:73], v[46:47], -v[74:75]
	v_add_f64 v[46:47], v[82:83], v[62:63]
	v_add_f64 v[44:45], v[80:81], v[60:61]
	v_fma_f64 v[68:69], v[96:97], v[68:69], v[88:89]
	v_add_f64 v[74:75], v[108:109], -v[70:71]
	v_add_f64 v[80:81], v[108:109], v[70:71]
	v_fma_f64 v[66:67], v[92:93], v[66:67], -v[94:95]
	v_fma_f64 v[64:65], v[92:93], v[64:65], v[90:91]
	s_mov_b32 s26, 0x7f775887
	v_add_f64 v[46:47], v[46:47], v[72:73]
	v_add_f64 v[44:45], v[44:45], v[98:99]
	;; [unrolled: 1-line block ×3, first 2 shown]
	v_mul_f64 v[88:89], v[74:75], s[12:13]
	v_add_f64 v[90:91], v[102:103], -v[68:69]
	v_mul_f64 v[92:93], v[80:81], s[6:7]
	v_mul_f64 v[96:97], v[74:75], s[0:1]
	;; [unrolled: 1-line block ×3, first 2 shown]
	v_add_f64 v[46:47], v[46:47], v[66:67]
	v_mul_f64 v[114:115], v[74:75], s[24:25]
	v_mul_f64 v[74:75], v[74:75], s[30:31]
	v_add_f64 v[124:125], v[100:101], -v[66:67]
	v_add_f64 v[66:67], v[100:101], v[66:67]
	s_mov_b32 s34, 0x9bcd5057
	s_mov_b32 s19, 0x3fe14ced
	;; [unrolled: 1-line block ×6, first 2 shown]
	v_add_f64 v[44:45], v[44:45], v[64:65]
	v_fma_f64 v[94:95], v[82:83], s[6:7], v[88:89]
	v_mul_f64 v[102:103], v[80:81], s[4:5]
	v_fma_f64 v[104:105], v[90:91], s[18:19], v[92:93]
	v_mul_f64 v[110:111], v[80:81], s[20:21]
	v_mul_f64 v[116:117], v[80:81], s[26:27]
	;; [unrolled: 1-line block ×3, first 2 shown]
	v_fma_f64 v[100:101], v[82:83], s[34:35], v[74:75]
	v_add_f64 v[128:129], v[86:87], v[64:65]
	v_add_f64 v[64:65], v[86:87], -v[64:65]
	v_mul_f64 v[130:131], v[66:67], s[4:5]
	s_mov_b32 s15, 0x3fed1bb4
	s_mov_b32 s14, s0
	;; [unrolled: 1-line block ×8, first 2 shown]
	v_add_f64 v[44:45], v[44:45], v[68:69]
	v_add_f64 v[46:47], v[46:47], v[70:71]
	v_fma_f64 v[68:69], v[82:83], s[6:7], -v[88:89]
	v_add_f64 v[70:71], v[56:57], v[94:95]
	v_fma_f64 v[88:89], v[90:91], s[12:13], v[92:93]
	v_fma_f64 v[92:93], v[82:83], s[4:5], v[96:97]
	;; [unrolled: 1-line block ×3, first 2 shown]
	v_add_f64 v[104:105], v[58:59], v[104:105]
	v_fma_f64 v[96:97], v[82:83], s[4:5], -v[96:97]
	v_fma_f64 v[102:103], v[90:91], s[0:1], v[102:103]
	v_fma_f64 v[108:109], v[82:83], s[20:21], v[106:107]
	;; [unrolled: 1-line block ×3, first 2 shown]
	v_fma_f64 v[106:107], v[82:83], s[20:21], -v[106:107]
	v_fma_f64 v[110:111], v[90:91], s[16:17], v[110:111]
	v_fma_f64 v[120:121], v[82:83], s[26:27], v[114:115]
	;; [unrolled: 1-line block ×3, first 2 shown]
	v_fma_f64 v[114:115], v[82:83], s[26:27], -v[114:115]
	v_fma_f64 v[116:117], v[90:91], s[24:25], v[116:117]
	v_fma_f64 v[126:127], v[90:91], s[36:37], v[80:81]
	v_mul_f64 v[86:87], v[124:125], s[0:1]
	v_fma_f64 v[74:75], v[82:83], s[34:35], -v[74:75]
	v_fma_f64 v[80:81], v[90:91], s[30:31], v[80:81]
	v_add_f64 v[82:83], v[56:57], v[100:101]
	v_mul_f64 v[100:101], v[124:125], s[24:25]
	v_fma_f64 v[134:135], v[64:65], s[14:15], v[130:131]
	v_add_f64 v[68:69], v[56:57], v[68:69]
	v_add_f64 v[88:89], v[58:59], v[88:89]
	;; [unrolled: 1-line block ×15, first 2 shown]
	v_mul_f64 v[126:127], v[66:67], s[26:27]
	v_fma_f64 v[132:133], v[128:129], s[4:5], v[86:87]
	v_add_f64 v[56:57], v[56:57], v[74:75]
	v_add_f64 v[58:59], v[58:59], v[80:81]
	v_fma_f64 v[74:75], v[128:129], s[4:5], -v[86:87]
	v_fma_f64 v[80:81], v[64:65], s[0:1], v[130:131]
	v_fma_f64 v[86:87], v[128:129], s[26:27], v[100:101]
	v_add_f64 v[104:105], v[134:135], v[104:105]
	v_mul_f64 v[134:135], v[66:67], s[34:35]
	v_fma_f64 v[130:131], v[64:65], s[28:29], v[126:127]
	v_add_f64 v[70:71], v[132:133], v[70:71]
	v_mul_f64 v[132:133], v[124:125], s[36:37]
	v_add_f64 v[68:69], v[74:75], v[68:69]
	v_add_f64 v[74:75], v[80:81], v[88:89]
	;; [unrolled: 1-line block ×3, first 2 shown]
	v_fma_f64 v[88:89], v[128:129], s[26:27], -v[100:101]
	v_fma_f64 v[92:93], v[64:65], s[24:25], v[126:127]
	v_fma_f64 v[100:101], v[64:65], s[30:31], v[134:135]
	v_mul_f64 v[126:127], v[124:125], s[22:23]
	v_add_f64 v[86:87], v[130:131], v[94:95]
	v_fma_f64 v[94:95], v[128:129], s[34:35], v[132:133]
	v_mul_f64 v[130:131], v[66:67], s[20:21]
	v_fma_f64 v[134:135], v[64:65], s[36:37], v[134:135]
	v_add_f64 v[88:89], v[88:89], v[96:97]
	v_mul_f64 v[124:125], v[124:125], s[18:19]
	v_add_f64 v[96:97], v[100:101], v[118:119]
	v_fma_f64 v[100:101], v[128:129], s[20:21], v[126:127]
	v_mul_f64 v[66:67], v[66:67], s[6:7]
	v_add_f64 v[94:95], v[94:95], v[108:109]
	v_fma_f64 v[118:119], v[64:65], s[22:23], v[130:131]
	v_add_f64 v[108:109], v[134:135], v[110:111]
	v_fma_f64 v[110:111], v[128:129], s[20:21], -v[126:127]
	v_add_f64 v[92:93], v[92:93], v[102:103]
	v_fma_f64 v[102:103], v[64:65], s[16:17], v[130:131]
	v_add_f64 v[100:101], v[100:101], v[120:121]
	v_add_f64 v[120:121], v[84:85], -v[72:73]
	v_add_f64 v[72:73], v[84:85], v[72:73]
	v_fma_f64 v[132:133], v[128:129], s[34:35], -v[132:133]
	v_add_f64 v[84:85], v[110:111], v[114:115]
	v_add_f64 v[110:111], v[118:119], v[116:117]
	v_fma_f64 v[114:115], v[128:129], s[6:7], v[124:125]
	v_fma_f64 v[116:117], v[64:65], s[12:13], v[66:67]
	v_add_f64 v[118:119], v[78:79], v[98:99]
	v_add_f64 v[78:79], v[78:79], -v[98:99]
	v_mul_f64 v[98:99], v[120:121], s[16:17]
	v_add_f64 v[102:103], v[102:103], v[122:123]
	v_mul_f64 v[122:123], v[72:73], s[20:21]
	v_fma_f64 v[124:125], v[128:129], s[6:7], -v[124:125]
	v_fma_f64 v[64:65], v[64:65], s[18:19], v[66:67]
	v_add_f64 v[66:67], v[114:115], v[82:83]
	v_add_f64 v[82:83], v[116:117], v[90:91]
	v_mul_f64 v[90:91], v[120:121], s[36:37]
	v_mul_f64 v[114:115], v[72:73], s[34:35]
	v_fma_f64 v[116:117], v[118:119], s[20:21], v[98:99]
	v_fma_f64 v[126:127], v[78:79], s[22:23], v[122:123]
	v_add_f64 v[56:57], v[124:125], v[56:57]
	v_add_f64 v[58:59], v[64:65], v[58:59]
	v_fma_f64 v[64:65], v[118:119], s[20:21], -v[98:99]
	v_fma_f64 v[98:99], v[78:79], s[16:17], v[122:123]
	v_fma_f64 v[122:123], v[118:119], s[34:35], v[90:91]
	;; [unrolled: 1-line block ×3, first 2 shown]
	v_add_f64 v[70:71], v[116:117], v[70:71]
	v_mul_f64 v[116:117], v[120:121], s[14:15]
	v_add_f64 v[104:105], v[126:127], v[104:105]
	v_mul_f64 v[126:127], v[72:73], s[4:5]
	v_add_f64 v[64:65], v[64:65], v[68:69]
	v_add_f64 v[68:69], v[98:99], v[74:75]
	;; [unrolled: 1-line block ×4, first 2 shown]
	v_fma_f64 v[86:87], v[118:119], s[34:35], -v[90:91]
	v_fma_f64 v[90:91], v[78:79], s[36:37], v[114:115]
	v_fma_f64 v[98:99], v[118:119], s[4:5], v[116:117]
	v_mul_f64 v[122:123], v[120:121], s[12:13]
	v_add_f64 v[106:107], v[132:133], v[106:107]
	v_fma_f64 v[114:115], v[78:79], s[0:1], v[126:127]
	v_mul_f64 v[124:125], v[72:73], s[6:7]
	v_fma_f64 v[116:117], v[118:119], s[4:5], -v[116:117]
	v_fma_f64 v[126:127], v[78:79], s[14:15], v[126:127]
	v_add_f64 v[86:87], v[86:87], v[88:89]
	v_add_f64 v[88:89], v[90:91], v[92:93]
	;; [unrolled: 1-line block ×3, first 2 shown]
	v_fma_f64 v[94:95], v[118:119], s[6:7], v[122:123]
	v_add_f64 v[92:93], v[114:115], v[96:97]
	v_fma_f64 v[96:97], v[78:79], s[18:19], v[124:125]
	v_add_f64 v[98:99], v[116:117], v[106:107]
	v_add_f64 v[106:107], v[126:127], v[108:109]
	v_mul_f64 v[108:109], v[120:121], s[24:25]
	v_mul_f64 v[72:73], v[72:73], s[26:27]
	v_fma_f64 v[114:115], v[118:119], s[6:7], -v[122:123]
	v_add_f64 v[94:95], v[94:95], v[100:101]
	v_add_f64 v[100:101], v[76:77], -v[62:63]
	v_fma_f64 v[116:117], v[78:79], s[12:13], v[124:125]
	v_add_f64 v[96:97], v[96:97], v[102:103]
	v_add_f64 v[62:63], v[76:77], v[62:63]
	v_fma_f64 v[76:77], v[118:119], s[26:27], v[108:109]
	v_fma_f64 v[102:103], v[78:79], s[28:29], v[72:73]
	v_add_f64 v[84:85], v[114:115], v[84:85]
	v_add_f64 v[114:115], v[112:113], v[60:61]
	v_add_f64 v[60:61], v[112:113], -v[60:61]
	v_mul_f64 v[112:113], v[100:101], s[24:25]
	v_add_f64 v[110:111], v[116:117], v[110:111]
	v_mul_f64 v[116:117], v[62:63], s[26:27]
	v_add_f64 v[66:67], v[76:77], v[66:67]
	v_add_f64 v[76:77], v[102:103], v[82:83]
	v_fma_f64 v[82:83], v[118:119], s[26:27], -v[108:109]
	v_fma_f64 v[72:73], v[78:79], s[24:25], v[72:73]
	v_mul_f64 v[78:79], v[100:101], s[22:23]
	v_fma_f64 v[108:109], v[114:115], s[26:27], v[112:113]
	v_fma_f64 v[112:113], v[114:115], s[26:27], -v[112:113]
	v_mul_f64 v[102:103], v[62:63], s[20:21]
	v_fma_f64 v[118:119], v[60:61], s[28:29], v[116:117]
	v_fma_f64 v[116:117], v[60:61], s[24:25], v[116:117]
	v_add_f64 v[56:57], v[82:83], v[56:57]
	v_add_f64 v[58:59], v[72:73], v[58:59]
	v_fma_f64 v[72:73], v[114:115], s[20:21], v[78:79]
	v_add_f64 v[70:71], v[108:109], v[70:71]
	v_add_f64 v[64:65], v[112:113], v[64:65]
	v_mul_f64 v[108:109], v[100:101], s[12:13]
	v_mul_f64 v[112:113], v[62:63], s[6:7]
	v_fma_f64 v[82:83], v[60:61], s[16:17], v[102:103]
	v_add_f64 v[104:105], v[118:119], v[104:105]
	v_add_f64 v[68:69], v[116:117], v[68:69]
	v_fma_f64 v[78:79], v[114:115], s[20:21], -v[78:79]
	v_fma_f64 v[102:103], v[60:61], s[22:23], v[102:103]
	v_add_f64 v[72:73], v[72:73], v[74:75]
	v_fma_f64 v[116:117], v[114:115], s[6:7], v[108:109]
	v_fma_f64 v[118:119], v[60:61], s[18:19], v[112:113]
	v_fma_f64 v[108:109], v[114:115], s[6:7], -v[108:109]
	v_fma_f64 v[112:113], v[60:61], s[12:13], v[112:113]
	v_add_f64 v[74:75], v[82:83], v[80:81]
	v_mul_f64 v[80:81], v[100:101], s[30:31]
	v_mul_f64 v[82:83], v[62:63], s[34:35]
	v_add_f64 v[78:79], v[78:79], v[86:87]
	v_add_f64 v[86:87], v[102:103], v[88:89]
	v_add_f64 v[88:89], v[116:117], v[90:91]
	v_add_f64 v[90:91], v[118:119], v[92:93]
	v_add_f64 v[92:93], v[108:109], v[98:99]
	v_add_f64 v[98:99], v[112:113], v[106:107]
	v_add_f64 v[102:103], v[50:51], -v[54:55]
	v_add_f64 v[106:107], v[50:51], v[54:55]
	v_mul_f64 v[50:51], v[100:101], s[14:15]
	v_mul_f64 v[54:55], v[62:63], s[4:5]
	v_fma_f64 v[120:121], v[114:115], s[34:35], v[80:81]
	v_fma_f64 v[122:123], v[60:61], s[36:37], v[82:83]
	v_fma_f64 v[62:63], v[114:115], s[34:35], -v[80:81]
	v_fma_f64 v[80:81], v[60:61], s[30:31], v[82:83]
	v_add_f64 v[82:83], v[48:49], v[52:53]
	v_add_f64 v[100:101], v[48:49], -v[52:53]
	v_mul_f64 v[52:53], v[102:103], s[30:31]
	v_fma_f64 v[48:49], v[114:115], s[4:5], v[50:51]
	v_fma_f64 v[112:113], v[60:61], s[0:1], v[54:55]
	v_mul_f64 v[108:109], v[106:107], s[34:35]
	v_fma_f64 v[50:51], v[114:115], s[4:5], -v[50:51]
	v_add_f64 v[110:111], v[80:81], v[110:111]
	v_fma_f64 v[54:55], v[60:61], s[14:15], v[54:55]
	v_add_f64 v[84:85], v[62:63], v[84:85]
	v_fma_f64 v[60:61], v[82:83], s[34:35], v[52:53]
	v_add_f64 v[80:81], v[48:49], v[66:67]
	v_add_f64 v[112:113], v[112:113], v[76:77]
	v_mul_f64 v[66:67], v[102:103], s[18:19]
	v_mul_f64 v[76:77], v[106:107], s[6:7]
	v_fma_f64 v[62:63], v[100:101], s[36:37], v[108:109]
	v_add_f64 v[114:115], v[50:51], v[56:57]
	v_add_f64 v[116:117], v[54:55], v[58:59]
	;; [unrolled: 1-line block ×3, first 2 shown]
	v_fma_f64 v[52:53], v[82:83], s[34:35], -v[52:53]
	v_fma_f64 v[54:55], v[100:101], s[30:31], v[108:109]
	v_fma_f64 v[56:57], v[82:83], s[6:7], v[66:67]
	;; [unrolled: 1-line block ×3, first 2 shown]
	v_mul_f64 v[70:71], v[102:103], s[24:25]
	v_fma_f64 v[60:61], v[82:83], s[6:7], -v[66:67]
	v_mul_f64 v[66:67], v[106:107], s[26:27]
	v_add_f64 v[50:51], v[62:63], v[104:105]
	v_fma_f64 v[62:63], v[100:101], s[18:19], v[76:77]
	v_add_f64 v[52:53], v[52:53], v[64:65]
	v_add_f64 v[54:55], v[54:55], v[68:69]
	;; [unrolled: 1-line block ×4, first 2 shown]
	v_fma_f64 v[64:65], v[82:83], s[26:27], v[70:71]
	v_fma_f64 v[68:69], v[100:101], s[28:29], v[66:67]
	v_fma_f64 v[70:71], v[82:83], s[26:27], -v[70:71]
	v_fma_f64 v[72:73], v[100:101], s[24:25], v[66:67]
	v_mul_f64 v[74:75], v[102:103], s[14:15]
	v_mul_f64 v[76:77], v[106:107], s[4:5]
	v_add_f64 v[60:61], v[60:61], v[78:79]
	v_add_f64 v[62:63], v[62:63], v[86:87]
	v_mul_f64 v[78:79], v[102:103], s[16:17]
	v_mul_f64 v[86:87], v[106:107], s[20:21]
	v_add_f64 v[94:95], v[120:121], v[94:95]
	v_add_f64 v[96:97], v[122:123], v[96:97]
	;; [unrolled: 1-line block ×6, first 2 shown]
	v_fma_f64 v[72:73], v[82:83], s[4:5], v[74:75]
	v_fma_f64 v[88:89], v[100:101], s[0:1], v[76:77]
	;; [unrolled: 1-line block ×4, first 2 shown]
	v_fma_f64 v[90:91], v[82:83], s[4:5], -v[74:75]
	v_fma_f64 v[78:79], v[82:83], s[20:21], -v[78:79]
	v_fma_f64 v[86:87], v[100:101], s[16:17], v[86:87]
	v_fma_f64 v[100:101], v[100:101], s[14:15], v[76:77]
	v_add_f64 v[72:73], v[72:73], v[94:95]
	v_add_f64 v[74:75], v[88:89], v[96:97]
	;; [unrolled: 1-line block ×8, first 2 shown]
	ds_write_b128 v158, v[44:47]
	ds_write_b128 v158, v[48:51] offset:352
	ds_write_b128 v158, v[56:59] offset:704
	;; [unrolled: 1-line block ×10, first 2 shown]
	s_waitcnt lgkmcnt(0)
	s_barrier
	ds_read_b128 v[44:47], v158
	ds_read_b128 v[48:51], v158 offset:352
	v_mad_u64_u32 v[52:53], s[0:1], s10, v156, 0
	s_waitcnt lgkmcnt(1)
	v_mul_f64 v[54:55], v[42:43], v[46:47]
	v_mul_f64 v[42:43], v[42:43], v[44:45]
	v_mad_u64_u32 v[56:57], s[0:1], s11, v156, v[53:54]
	v_mad_u64_u32 v[57:58], s[0:1], s8, v157, 0
	v_fma_f64 v[44:45], v[40:41], v[44:45], v[54:55]
	v_fma_f64 v[42:43], v[40:41], v[46:47], -v[42:43]
	v_mov_b32_e32 v40, v58
	v_mad_u64_u32 v[46:47], s[0:1], s9, v157, v[40:41]
	s_mov_b32 s0, 0x6be69c90
	s_mov_b32 s1, 0x3f70ecf5
	v_mov_b32_e32 v58, v46
	s_waitcnt lgkmcnt(0)
	v_mul_f64 v[46:47], v[26:27], v[50:51]
	v_mul_f64 v[26:27], v[26:27], v[48:49]
	v_mov_b32_e32 v53, v56
	v_mul_f64 v[40:41], v[44:45], s[0:1]
	v_mul_f64 v[42:43], v[42:43], s[0:1]
	v_lshlrev_b64 v[44:45], 4, v[52:53]
	v_mov_b32_e32 v52, s3
	v_add_co_u32_e32 v53, vcc, s2, v44
	v_fma_f64 v[46:47], v[24:25], v[48:49], v[46:47]
	v_fma_f64 v[48:49], v[24:25], v[50:51], -v[26:27]
	ds_read_b128 v[24:27], v158 offset:704
	v_addc_co_u32_e32 v52, vcc, v52, v45, vcc
	v_lshlrev_b64 v[44:45], 4, v[57:58]
	s_mul_i32 s2, s9, 0x160
	v_add_co_u32_e32 v50, vcc, v53, v44
	v_addc_co_u32_e32 v51, vcc, v52, v45, vcc
	global_store_dwordx4 v[50:51], v[40:43], off
	s_mul_hi_u32 s3, s8, 0x160
	v_mul_f64 v[40:41], v[46:47], s[0:1]
	ds_read_b128 v[44:47], v158 offset:1056
	s_waitcnt lgkmcnt(1)
	v_mul_f64 v[52:53], v[34:35], v[26:27]
	v_mul_f64 v[34:35], v[34:35], v[24:25]
	;; [unrolled: 1-line block ×3, first 2 shown]
	s_add_i32 s2, s3, s2
	s_waitcnt lgkmcnt(0)
	v_mul_f64 v[48:49], v[14:15], v[46:47]
	v_mul_f64 v[14:15], v[14:15], v[44:45]
	s_mul_i32 s3, s8, 0x160
	v_mov_b32_e32 v54, s2
	v_fma_f64 v[24:25], v[32:33], v[24:25], v[52:53]
	v_fma_f64 v[26:27], v[32:33], v[26:27], -v[34:35]
	ds_read_b128 v[32:35], v158 offset:1408
	v_add_co_u32_e32 v50, vcc, s3, v50
	v_addc_co_u32_e32 v51, vcc, v51, v54, vcc
	global_store_dwordx4 v[50:51], v[40:43], off
	v_mul_f64 v[24:25], v[24:25], s[0:1]
	v_mul_f64 v[26:27], v[26:27], s[0:1]
	v_fma_f64 v[40:41], v[12:13], v[44:45], v[48:49]
	v_fma_f64 v[42:43], v[12:13], v[46:47], -v[14:15]
	ds_read_b128 v[12:15], v158 offset:1760
	s_waitcnt lgkmcnt(1)
	v_mul_f64 v[44:45], v[38:39], v[34:35]
	v_mul_f64 v[38:39], v[38:39], v[32:33]
	v_mov_b32_e32 v52, s2
	v_add_co_u32_e32 v46, vcc, s3, v50
	v_addc_co_u32_e32 v47, vcc, v51, v52, vcc
	global_store_dwordx4 v[46:47], v[24:27], off
	v_fma_f64 v[32:33], v[36:37], v[32:33], v[44:45]
	v_mul_f64 v[24:25], v[40:41], s[0:1]
	v_mul_f64 v[26:27], v[42:43], s[0:1]
	v_fma_f64 v[34:35], v[36:37], v[34:35], -v[38:39]
	s_waitcnt lgkmcnt(0)
	v_mul_f64 v[36:37], v[10:11], v[14:15]
	v_mul_f64 v[10:11], v[10:11], v[12:13]
	v_mov_b32_e32 v40, s2
	v_add_co_u32_e32 v38, vcc, s3, v46
	v_addc_co_u32_e32 v39, vcc, v47, v40, vcc
	global_store_dwordx4 v[38:39], v[24:27], off
	v_fma_f64 v[12:13], v[8:9], v[12:13], v[36:37]
	v_mul_f64 v[24:25], v[32:33], s[0:1]
	v_mul_f64 v[26:27], v[34:35], s[0:1]
	ds_read_b128 v[32:35], v158 offset:2112
	v_fma_f64 v[14:15], v[8:9], v[14:15], -v[10:11]
	ds_read_b128 v[8:11], v158 offset:2464
	v_add_co_u32_e32 v38, vcc, s3, v38
	s_waitcnt lgkmcnt(1)
	v_mul_f64 v[36:37], v[30:31], v[34:35]
	v_mul_f64 v[30:31], v[30:31], v[32:33]
	v_addc_co_u32_e32 v39, vcc, v39, v40, vcc
	global_store_dwordx4 v[38:39], v[24:27], off
	v_mul_f64 v[12:13], v[12:13], s[0:1]
	v_mul_f64 v[14:15], v[14:15], s[0:1]
	v_fma_f64 v[24:25], v[28:29], v[32:33], v[36:37]
	v_fma_f64 v[26:27], v[28:29], v[34:35], -v[30:31]
	s_waitcnt lgkmcnt(0)
	v_mul_f64 v[28:29], v[6:7], v[10:11]
	v_mul_f64 v[6:7], v[6:7], v[8:9]
	v_add_co_u32_e32 v30, vcc, s3, v38
	v_addc_co_u32_e32 v31, vcc, v39, v40, vcc
	global_store_dwordx4 v[30:31], v[12:15], off
	v_mov_b32_e32 v32, s2
	v_mul_f64 v[12:13], v[24:25], s[0:1]
	v_mul_f64 v[14:15], v[26:27], s[0:1]
	ds_read_b128 v[24:27], v158 offset:2816
	v_fma_f64 v[8:9], v[4:5], v[8:9], v[28:29]
	v_fma_f64 v[10:11], v[4:5], v[10:11], -v[6:7]
	ds_read_b128 v[4:7], v158 offset:3168
	v_add_co_u32_e32 v30, vcc, s3, v30
	s_waitcnt lgkmcnt(1)
	v_mul_f64 v[28:29], v[22:23], v[26:27]
	v_mul_f64 v[22:23], v[22:23], v[24:25]
	v_addc_co_u32_e32 v31, vcc, v31, v32, vcc
	global_store_dwordx4 v[30:31], v[12:15], off
	ds_read_b128 v[12:15], v158 offset:3520
	v_mul_f64 v[8:9], v[8:9], s[0:1]
	v_mul_f64 v[10:11], v[10:11], s[0:1]
	v_fma_f64 v[24:25], v[20:21], v[24:25], v[28:29]
	v_fma_f64 v[20:21], v[20:21], v[26:27], -v[22:23]
	s_waitcnt lgkmcnt(1)
	v_mul_f64 v[26:27], v[2:3], v[6:7]
	v_mul_f64 v[2:3], v[2:3], v[4:5]
	s_waitcnt lgkmcnt(0)
	v_mul_f64 v[28:29], v[18:19], v[14:15]
	v_mul_f64 v[18:19], v[18:19], v[12:13]
	v_add_co_u32_e32 v22, vcc, s3, v30
	v_addc_co_u32_e32 v23, vcc, v31, v32, vcc
	v_fma_f64 v[4:5], v[0:1], v[4:5], v[26:27]
	v_fma_f64 v[2:3], v[0:1], v[6:7], -v[2:3]
	v_fma_f64 v[6:7], v[16:17], v[12:13], v[28:29]
	v_fma_f64 v[12:13], v[16:17], v[14:15], -v[18:19]
	global_store_dwordx4 v[22:23], v[8:11], off
	v_add_co_u32_e32 v14, vcc, s3, v22
	v_mul_f64 v[8:9], v[24:25], s[0:1]
	v_mul_f64 v[10:11], v[20:21], s[0:1]
	;; [unrolled: 1-line block ×6, first 2 shown]
	v_mov_b32_e32 v20, s2
	v_addc_co_u32_e32 v15, vcc, v23, v20, vcc
	global_store_dwordx4 v[14:15], v[8:11], off
	s_nop 0
	v_mov_b32_e32 v9, s2
	v_add_co_u32_e32 v8, vcc, s3, v14
	v_addc_co_u32_e32 v9, vcc, v15, v9, vcc
	global_store_dwordx4 v[8:9], v[0:3], off
	s_nop 0
	v_mov_b32_e32 v1, s2
	v_add_co_u32_e32 v0, vcc, s3, v8
	v_addc_co_u32_e32 v1, vcc, v9, v1, vcc
	global_store_dwordx4 v[0:1], v[4:7], off
.LBB0_10:
	s_endpgm
	.section	.rodata,"a",@progbits
	.p2align	6, 0x0
	.amdhsa_kernel bluestein_single_fwd_len242_dim1_dp_op_CI_CI
		.amdhsa_group_segment_fixed_size 19360
		.amdhsa_private_segment_fixed_size 0
		.amdhsa_kernarg_size 104
		.amdhsa_user_sgpr_count 6
		.amdhsa_user_sgpr_private_segment_buffer 1
		.amdhsa_user_sgpr_dispatch_ptr 0
		.amdhsa_user_sgpr_queue_ptr 0
		.amdhsa_user_sgpr_kernarg_segment_ptr 1
		.amdhsa_user_sgpr_dispatch_id 0
		.amdhsa_user_sgpr_flat_scratch_init 0
		.amdhsa_user_sgpr_private_segment_size 0
		.amdhsa_uses_dynamic_stack 0
		.amdhsa_system_sgpr_private_segment_wavefront_offset 0
		.amdhsa_system_sgpr_workgroup_id_x 1
		.amdhsa_system_sgpr_workgroup_id_y 0
		.amdhsa_system_sgpr_workgroup_id_z 0
		.amdhsa_system_sgpr_workgroup_info 0
		.amdhsa_system_vgpr_workitem_id 0
		.amdhsa_next_free_vgpr 230
		.amdhsa_next_free_sgpr 38
		.amdhsa_reserve_vcc 1
		.amdhsa_reserve_flat_scratch 0
		.amdhsa_float_round_mode_32 0
		.amdhsa_float_round_mode_16_64 0
		.amdhsa_float_denorm_mode_32 3
		.amdhsa_float_denorm_mode_16_64 3
		.amdhsa_dx10_clamp 1
		.amdhsa_ieee_mode 1
		.amdhsa_fp16_overflow 0
		.amdhsa_exception_fp_ieee_invalid_op 0
		.amdhsa_exception_fp_denorm_src 0
		.amdhsa_exception_fp_ieee_div_zero 0
		.amdhsa_exception_fp_ieee_overflow 0
		.amdhsa_exception_fp_ieee_underflow 0
		.amdhsa_exception_fp_ieee_inexact 0
		.amdhsa_exception_int_div_zero 0
	.end_amdhsa_kernel
	.text
.Lfunc_end0:
	.size	bluestein_single_fwd_len242_dim1_dp_op_CI_CI, .Lfunc_end0-bluestein_single_fwd_len242_dim1_dp_op_CI_CI
                                        ; -- End function
	.section	.AMDGPU.csdata,"",@progbits
; Kernel info:
; codeLenInByte = 16000
; NumSgprs: 42
; NumVgprs: 230
; ScratchSize: 0
; MemoryBound: 0
; FloatMode: 240
; IeeeMode: 1
; LDSByteSize: 19360 bytes/workgroup (compile time only)
; SGPRBlocks: 5
; VGPRBlocks: 57
; NumSGPRsForWavesPerEU: 42
; NumVGPRsForWavesPerEU: 230
; Occupancy: 1
; WaveLimiterHint : 1
; COMPUTE_PGM_RSRC2:SCRATCH_EN: 0
; COMPUTE_PGM_RSRC2:USER_SGPR: 6
; COMPUTE_PGM_RSRC2:TRAP_HANDLER: 0
; COMPUTE_PGM_RSRC2:TGID_X_EN: 1
; COMPUTE_PGM_RSRC2:TGID_Y_EN: 0
; COMPUTE_PGM_RSRC2:TGID_Z_EN: 0
; COMPUTE_PGM_RSRC2:TIDIG_COMP_CNT: 0
	.type	__hip_cuid_6246e1ff1f5c373f,@object ; @__hip_cuid_6246e1ff1f5c373f
	.section	.bss,"aw",@nobits
	.globl	__hip_cuid_6246e1ff1f5c373f
__hip_cuid_6246e1ff1f5c373f:
	.byte	0                               ; 0x0
	.size	__hip_cuid_6246e1ff1f5c373f, 1

	.ident	"AMD clang version 19.0.0git (https://github.com/RadeonOpenCompute/llvm-project roc-6.4.0 25133 c7fe45cf4b819c5991fe208aaa96edf142730f1d)"
	.section	".note.GNU-stack","",@progbits
	.addrsig
	.addrsig_sym __hip_cuid_6246e1ff1f5c373f
	.amdgpu_metadata
---
amdhsa.kernels:
  - .args:
      - .actual_access:  read_only
        .address_space:  global
        .offset:         0
        .size:           8
        .value_kind:     global_buffer
      - .actual_access:  read_only
        .address_space:  global
        .offset:         8
        .size:           8
        .value_kind:     global_buffer
      - .actual_access:  read_only
        .address_space:  global
        .offset:         16
        .size:           8
        .value_kind:     global_buffer
      - .actual_access:  read_only
        .address_space:  global
        .offset:         24
        .size:           8
        .value_kind:     global_buffer
      - .actual_access:  read_only
        .address_space:  global
        .offset:         32
        .size:           8
        .value_kind:     global_buffer
      - .offset:         40
        .size:           8
        .value_kind:     by_value
      - .address_space:  global
        .offset:         48
        .size:           8
        .value_kind:     global_buffer
      - .address_space:  global
        .offset:         56
        .size:           8
        .value_kind:     global_buffer
      - .address_space:  global
        .offset:         64
        .size:           8
        .value_kind:     global_buffer
      - .address_space:  global
        .offset:         72
        .size:           8
        .value_kind:     global_buffer
      - .offset:         80
        .size:           4
        .value_kind:     by_value
      - .address_space:  global
        .offset:         88
        .size:           8
        .value_kind:     global_buffer
      - .address_space:  global
        .offset:         96
        .size:           8
        .value_kind:     global_buffer
    .group_segment_fixed_size: 19360
    .kernarg_segment_align: 8
    .kernarg_segment_size: 104
    .language:       OpenCL C
    .language_version:
      - 2
      - 0
    .max_flat_workgroup_size: 110
    .name:           bluestein_single_fwd_len242_dim1_dp_op_CI_CI
    .private_segment_fixed_size: 0
    .sgpr_count:     42
    .sgpr_spill_count: 0
    .symbol:         bluestein_single_fwd_len242_dim1_dp_op_CI_CI.kd
    .uniform_work_group_size: 1
    .uses_dynamic_stack: false
    .vgpr_count:     230
    .vgpr_spill_count: 0
    .wavefront_size: 64
amdhsa.target:   amdgcn-amd-amdhsa--gfx906
amdhsa.version:
  - 1
  - 2
...

	.end_amdgpu_metadata
